;; amdgpu-corpus repo=ROCm/rocFFT kind=compiled arch=gfx906 opt=O3
	.text
	.amdgcn_target "amdgcn-amd-amdhsa--gfx906"
	.amdhsa_code_object_version 6
	.protected	fft_rtc_fwd_len867_factors_17_17_3_wgs_51_tpt_51_halfLds_dp_ip_CI_sbrr_dirReg ; -- Begin function fft_rtc_fwd_len867_factors_17_17_3_wgs_51_tpt_51_halfLds_dp_ip_CI_sbrr_dirReg
	.globl	fft_rtc_fwd_len867_factors_17_17_3_wgs_51_tpt_51_halfLds_dp_ip_CI_sbrr_dirReg
	.p2align	8
	.type	fft_rtc_fwd_len867_factors_17_17_3_wgs_51_tpt_51_halfLds_dp_ip_CI_sbrr_dirReg,@function
fft_rtc_fwd_len867_factors_17_17_3_wgs_51_tpt_51_halfLds_dp_ip_CI_sbrr_dirReg: ; @fft_rtc_fwd_len867_factors_17_17_3_wgs_51_tpt_51_halfLds_dp_ip_CI_sbrr_dirReg
; %bb.0:
	s_load_dwordx2 s[14:15], s[4:5], 0x18
	s_load_dwordx4 s[8:11], s[4:5], 0x0
	s_load_dwordx2 s[12:13], s[4:5], 0x50
	v_mul_u32_u24_e32 v1, 0x506, v0
	v_add_u32_sdwa v5, s6, v1 dst_sel:DWORD dst_unused:UNUSED_PAD src0_sel:DWORD src1_sel:WORD_1
	s_waitcnt lgkmcnt(0)
	s_load_dwordx2 s[2:3], s[14:15], 0x0
	v_cmp_lt_u64_e64 s[0:1], s[10:11], 2
	v_mov_b32_e32 v3, 0
	v_mov_b32_e32 v1, 0
	;; [unrolled: 1-line block ×3, first 2 shown]
	s_and_b64 vcc, exec, s[0:1]
	v_mov_b32_e32 v2, 0
	s_cbranch_vccnz .LBB0_8
; %bb.1:
	s_load_dwordx2 s[0:1], s[4:5], 0x10
	s_add_u32 s6, s14, 8
	s_addc_u32 s7, s15, 0
	v_mov_b32_e32 v1, 0
	v_mov_b32_e32 v2, 0
	s_waitcnt lgkmcnt(0)
	s_add_u32 s16, s0, 8
	s_addc_u32 s17, s1, 0
	s_mov_b64 s[18:19], 1
.LBB0_2:                                ; =>This Inner Loop Header: Depth=1
	s_load_dwordx2 s[20:21], s[16:17], 0x0
                                        ; implicit-def: $vgpr7_vgpr8
	s_waitcnt lgkmcnt(0)
	v_or_b32_e32 v4, s21, v6
	v_cmp_ne_u64_e32 vcc, 0, v[3:4]
	s_and_saveexec_b64 s[0:1], vcc
	s_xor_b64 s[22:23], exec, s[0:1]
	s_cbranch_execz .LBB0_4
; %bb.3:                                ;   in Loop: Header=BB0_2 Depth=1
	v_cvt_f32_u32_e32 v4, s20
	v_cvt_f32_u32_e32 v7, s21
	s_sub_u32 s0, 0, s20
	s_subb_u32 s1, 0, s21
	v_mac_f32_e32 v4, 0x4f800000, v7
	v_rcp_f32_e32 v4, v4
	v_mul_f32_e32 v4, 0x5f7ffffc, v4
	v_mul_f32_e32 v7, 0x2f800000, v4
	v_trunc_f32_e32 v7, v7
	v_mac_f32_e32 v4, 0xcf800000, v7
	v_cvt_u32_f32_e32 v7, v7
	v_cvt_u32_f32_e32 v4, v4
	v_mul_lo_u32 v8, s0, v7
	v_mul_hi_u32 v9, s0, v4
	v_mul_lo_u32 v11, s1, v4
	v_mul_lo_u32 v10, s0, v4
	v_add_u32_e32 v8, v9, v8
	v_add_u32_e32 v8, v8, v11
	v_mul_hi_u32 v9, v4, v10
	v_mul_lo_u32 v11, v4, v8
	v_mul_hi_u32 v13, v4, v8
	v_mul_hi_u32 v12, v7, v10
	v_mul_lo_u32 v10, v7, v10
	v_mul_hi_u32 v14, v7, v8
	v_add_co_u32_e32 v9, vcc, v9, v11
	v_addc_co_u32_e32 v11, vcc, 0, v13, vcc
	v_mul_lo_u32 v8, v7, v8
	v_add_co_u32_e32 v9, vcc, v9, v10
	v_addc_co_u32_e32 v9, vcc, v11, v12, vcc
	v_addc_co_u32_e32 v10, vcc, 0, v14, vcc
	v_add_co_u32_e32 v8, vcc, v9, v8
	v_addc_co_u32_e32 v9, vcc, 0, v10, vcc
	v_add_co_u32_e32 v4, vcc, v4, v8
	v_addc_co_u32_e32 v7, vcc, v7, v9, vcc
	v_mul_lo_u32 v8, s0, v7
	v_mul_hi_u32 v9, s0, v4
	v_mul_lo_u32 v10, s1, v4
	v_mul_lo_u32 v11, s0, v4
	v_add_u32_e32 v8, v9, v8
	v_add_u32_e32 v8, v8, v10
	v_mul_lo_u32 v12, v4, v8
	v_mul_hi_u32 v13, v4, v11
	v_mul_hi_u32 v14, v4, v8
	;; [unrolled: 1-line block ×3, first 2 shown]
	v_mul_lo_u32 v11, v7, v11
	v_mul_hi_u32 v9, v7, v8
	v_add_co_u32_e32 v12, vcc, v13, v12
	v_addc_co_u32_e32 v13, vcc, 0, v14, vcc
	v_mul_lo_u32 v8, v7, v8
	v_add_co_u32_e32 v11, vcc, v12, v11
	v_addc_co_u32_e32 v10, vcc, v13, v10, vcc
	v_addc_co_u32_e32 v9, vcc, 0, v9, vcc
	v_add_co_u32_e32 v8, vcc, v10, v8
	v_addc_co_u32_e32 v9, vcc, 0, v9, vcc
	v_add_co_u32_e32 v4, vcc, v4, v8
	v_addc_co_u32_e32 v9, vcc, v7, v9, vcc
	v_mad_u64_u32 v[7:8], s[0:1], v5, v9, 0
	v_mul_hi_u32 v10, v5, v4
	v_add_co_u32_e32 v11, vcc, v10, v7
	v_addc_co_u32_e32 v12, vcc, 0, v8, vcc
	v_mad_u64_u32 v[7:8], s[0:1], v6, v4, 0
	v_mad_u64_u32 v[9:10], s[0:1], v6, v9, 0
	v_add_co_u32_e32 v4, vcc, v11, v7
	v_addc_co_u32_e32 v4, vcc, v12, v8, vcc
	v_addc_co_u32_e32 v7, vcc, 0, v10, vcc
	v_add_co_u32_e32 v4, vcc, v4, v9
	v_addc_co_u32_e32 v9, vcc, 0, v7, vcc
	v_mul_lo_u32 v10, s21, v4
	v_mul_lo_u32 v11, s20, v9
	v_mad_u64_u32 v[7:8], s[0:1], s20, v4, 0
	v_add3_u32 v8, v8, v11, v10
	v_sub_u32_e32 v10, v6, v8
	v_mov_b32_e32 v11, s21
	v_sub_co_u32_e32 v7, vcc, v5, v7
	v_subb_co_u32_e64 v10, s[0:1], v10, v11, vcc
	v_subrev_co_u32_e64 v11, s[0:1], s20, v7
	v_subbrev_co_u32_e64 v10, s[0:1], 0, v10, s[0:1]
	v_cmp_le_u32_e64 s[0:1], s21, v10
	v_cndmask_b32_e64 v12, 0, -1, s[0:1]
	v_cmp_le_u32_e64 s[0:1], s20, v11
	v_cndmask_b32_e64 v11, 0, -1, s[0:1]
	v_cmp_eq_u32_e64 s[0:1], s21, v10
	v_cndmask_b32_e64 v10, v12, v11, s[0:1]
	v_add_co_u32_e64 v11, s[0:1], 2, v4
	v_addc_co_u32_e64 v12, s[0:1], 0, v9, s[0:1]
	v_add_co_u32_e64 v13, s[0:1], 1, v4
	v_addc_co_u32_e64 v14, s[0:1], 0, v9, s[0:1]
	v_subb_co_u32_e32 v8, vcc, v6, v8, vcc
	v_cmp_ne_u32_e64 s[0:1], 0, v10
	v_cmp_le_u32_e32 vcc, s21, v8
	v_cndmask_b32_e64 v10, v14, v12, s[0:1]
	v_cndmask_b32_e64 v12, 0, -1, vcc
	v_cmp_le_u32_e32 vcc, s20, v7
	v_cndmask_b32_e64 v7, 0, -1, vcc
	v_cmp_eq_u32_e32 vcc, s21, v8
	v_cndmask_b32_e32 v7, v12, v7, vcc
	v_cmp_ne_u32_e32 vcc, 0, v7
	v_cndmask_b32_e64 v7, v13, v11, s[0:1]
	v_cndmask_b32_e32 v8, v9, v10, vcc
	v_cndmask_b32_e32 v7, v4, v7, vcc
.LBB0_4:                                ;   in Loop: Header=BB0_2 Depth=1
	s_andn2_saveexec_b64 s[0:1], s[22:23]
	s_cbranch_execz .LBB0_6
; %bb.5:                                ;   in Loop: Header=BB0_2 Depth=1
	v_cvt_f32_u32_e32 v4, s20
	s_sub_i32 s22, 0, s20
	v_rcp_iflag_f32_e32 v4, v4
	v_mul_f32_e32 v4, 0x4f7ffffe, v4
	v_cvt_u32_f32_e32 v4, v4
	v_mul_lo_u32 v7, s22, v4
	v_mul_hi_u32 v7, v4, v7
	v_add_u32_e32 v4, v4, v7
	v_mul_hi_u32 v4, v5, v4
	v_mul_lo_u32 v7, v4, s20
	v_add_u32_e32 v8, 1, v4
	v_sub_u32_e32 v7, v5, v7
	v_subrev_u32_e32 v9, s20, v7
	v_cmp_le_u32_e32 vcc, s20, v7
	v_cndmask_b32_e32 v7, v7, v9, vcc
	v_cndmask_b32_e32 v4, v4, v8, vcc
	v_add_u32_e32 v8, 1, v4
	v_cmp_le_u32_e32 vcc, s20, v7
	v_cndmask_b32_e32 v7, v4, v8, vcc
	v_mov_b32_e32 v8, v3
.LBB0_6:                                ;   in Loop: Header=BB0_2 Depth=1
	s_or_b64 exec, exec, s[0:1]
	v_mul_lo_u32 v4, v8, s20
	v_mul_lo_u32 v11, v7, s21
	v_mad_u64_u32 v[9:10], s[0:1], v7, s20, 0
	s_load_dwordx2 s[0:1], s[6:7], 0x0
	s_add_u32 s18, s18, 1
	v_add3_u32 v4, v10, v11, v4
	v_sub_co_u32_e32 v5, vcc, v5, v9
	v_subb_co_u32_e32 v4, vcc, v6, v4, vcc
	s_waitcnt lgkmcnt(0)
	v_mul_lo_u32 v4, s0, v4
	v_mul_lo_u32 v6, s1, v5
	v_mad_u64_u32 v[1:2], s[0:1], s0, v5, v[1:2]
	s_addc_u32 s19, s19, 0
	s_add_u32 s6, s6, 8
	v_add3_u32 v2, v6, v2, v4
	v_mov_b32_e32 v4, s10
	v_mov_b32_e32 v5, s11
	s_addc_u32 s7, s7, 0
	v_cmp_ge_u64_e32 vcc, s[18:19], v[4:5]
	s_add_u32 s16, s16, 8
	s_addc_u32 s17, s17, 0
	s_cbranch_vccnz .LBB0_9
; %bb.7:                                ;   in Loop: Header=BB0_2 Depth=1
	v_mov_b32_e32 v5, v7
	v_mov_b32_e32 v6, v8
	s_branch .LBB0_2
.LBB0_8:
	v_mov_b32_e32 v8, v6
	v_mov_b32_e32 v7, v5
.LBB0_9:
	s_lshl_b64 s[0:1], s[10:11], 3
	s_add_u32 s0, s14, s0
	s_addc_u32 s1, s15, s1
	s_load_dwordx2 s[6:7], s[0:1], 0x0
	s_load_dwordx2 s[10:11], s[4:5], 0x20
                                        ; implicit-def: $vgpr168
                                        ; implicit-def: $vgpr165
                                        ; implicit-def: $vgpr166
                                        ; implicit-def: $vgpr167
                                        ; implicit-def: $vgpr163
	s_waitcnt lgkmcnt(0)
	v_mad_u64_u32 v[1:2], s[0:1], s6, v7, v[1:2]
	s_mov_b32 s0, 0x5050506
	v_mul_lo_u32 v3, s6, v8
	v_mul_lo_u32 v4, s7, v7
	v_mul_hi_u32 v5, v0, s0
	v_cmp_gt_u64_e32 vcc, s[10:11], v[7:8]
	v_cmp_le_u64_e64 s[0:1], s[10:11], v[7:8]
	v_add3_u32 v2, v4, v2, v3
	v_mul_u32_u24_e32 v3, 51, v5
	v_sub_u32_e32 v162, v0, v3
	v_add_u32_e32 v164, 51, v162
	s_and_saveexec_b64 s[4:5], s[0:1]
	s_xor_b64 s[0:1], exec, s[4:5]
; %bb.10:
	v_add_u32_e32 v168, 51, v162
	v_add_u32_e32 v165, 0x66, v162
	;; [unrolled: 1-line block ×5, first 2 shown]
; %bb.11:
	s_or_saveexec_b64 s[4:5], s[0:1]
	v_lshlrev_b64 v[68:69], 4, v[1:2]
                                        ; implicit-def: $vgpr6_vgpr7
                                        ; implicit-def: $vgpr14_vgpr15
                                        ; implicit-def: $vgpr10_vgpr11
                                        ; implicit-def: $vgpr18_vgpr19
                                        ; implicit-def: $vgpr22_vgpr23
                                        ; implicit-def: $vgpr26_vgpr27
                                        ; implicit-def: $vgpr30_vgpr31
                                        ; implicit-def: $vgpr34_vgpr35
                                        ; implicit-def: $vgpr38_vgpr39
                                        ; implicit-def: $vgpr46_vgpr47
                                        ; implicit-def: $vgpr58_vgpr59
                                        ; implicit-def: $vgpr66_vgpr67
                                        ; implicit-def: $vgpr62_vgpr63
                                        ; implicit-def: $vgpr54_vgpr55
                                        ; implicit-def: $vgpr50_vgpr51
                                        ; implicit-def: $vgpr42_vgpr43
                                        ; implicit-def: $vgpr2_vgpr3
	s_xor_b64 exec, exec, s[4:5]
	s_cbranch_execz .LBB0_13
; %bb.12:
	v_mad_u64_u32 v[0:1], s[0:1], s2, v162, 0
	v_mov_b32_e32 v4, s13
	v_add_u32_e32 v165, 0x66, v162
	v_mad_u64_u32 v[1:2], s[0:1], s3, v162, v[1:2]
	v_mad_u64_u32 v[2:3], s[0:1], s2, v164, 0
	v_add_co_u32_e64 v10, s[0:1], s12, v68
	v_addc_co_u32_e64 v11, s[0:1], v4, v69, s[0:1]
	v_mad_u64_u32 v[3:4], s[0:1], s3, v164, v[3:4]
	v_mad_u64_u32 v[4:5], s[0:1], s2, v165, 0
	v_lshlrev_b64 v[0:1], 4, v[0:1]
	v_add_u32_e32 v166, 0x99, v162
	v_add_co_u32_e64 v6, s[0:1], v10, v0
	v_addc_co_u32_e64 v7, s[0:1], v11, v1, s[0:1]
	v_lshlrev_b64 v[0:1], 4, v[2:3]
	v_mov_b32_e32 v2, v5
	v_mad_u64_u32 v[2:3], s[0:1], s3, v165, v[2:3]
	v_mad_u64_u32 v[8:9], s[0:1], s2, v166, 0
	v_add_co_u32_e64 v12, s[0:1], v10, v0
	v_mov_b32_e32 v5, v2
	v_mov_b32_e32 v2, v9
	v_addc_co_u32_e64 v13, s[0:1], v11, v1, s[0:1]
	v_mad_u64_u32 v[2:3], s[0:1], s3, v166, v[2:3]
	v_add_u32_e32 v167, 0xcc, v162
	v_lshlrev_b64 v[0:1], 4, v[4:5]
	v_mad_u64_u32 v[3:4], s[0:1], s2, v167, 0
	v_add_co_u32_e64 v14, s[0:1], v10, v0
	v_mov_b32_e32 v9, v2
	v_add_u32_e32 v163, 0xff, v162
	v_addc_co_u32_e64 v15, s[0:1], v11, v1, s[0:1]
	v_lshlrev_b64 v[0:1], 4, v[8:9]
	v_mov_b32_e32 v2, v4
	v_mad_u64_u32 v[8:9], s[0:1], s2, v163, 0
	v_mad_u64_u32 v[4:5], s[0:1], s3, v167, v[2:3]
	v_add_co_u32_e64 v70, s[0:1], v10, v0
	v_mov_b32_e32 v2, v9
	v_addc_co_u32_e64 v71, s[0:1], v11, v1, s[0:1]
	v_lshlrev_b64 v[0:1], 4, v[3:4]
	v_mad_u64_u32 v[2:3], s[0:1], s3, v163, v[2:3]
	v_add_u32_e32 v5, 0x132, v162
	v_mad_u64_u32 v[3:4], s[0:1], s2, v5, 0
	v_add_co_u32_e64 v72, s[0:1], v10, v0
	v_mov_b32_e32 v9, v2
	v_mov_b32_e32 v2, v4
	v_addc_co_u32_e64 v73, s[0:1], v11, v1, s[0:1]
	v_mad_u64_u32 v[4:5], s[0:1], s3, v5, v[2:3]
	v_add_u32_e32 v5, 0x165, v162
	v_lshlrev_b64 v[0:1], 4, v[8:9]
	v_mad_u64_u32 v[8:9], s[0:1], s2, v5, 0
	v_add_co_u32_e64 v74, s[0:1], v10, v0
	v_mov_b32_e32 v2, v9
	v_addc_co_u32_e64 v75, s[0:1], v11, v1, s[0:1]
	v_lshlrev_b64 v[0:1], 4, v[3:4]
	v_mad_u64_u32 v[2:3], s[0:1], s3, v5, v[2:3]
	v_add_u32_e32 v5, 0x198, v162
	v_mad_u64_u32 v[3:4], s[0:1], s2, v5, 0
	v_add_co_u32_e64 v76, s[0:1], v10, v0
	v_mov_b32_e32 v9, v2
	v_mov_b32_e32 v2, v4
	v_addc_co_u32_e64 v77, s[0:1], v11, v1, s[0:1]
	v_mad_u64_u32 v[4:5], s[0:1], s3, v5, v[2:3]
	v_add_u32_e32 v5, 0x1cb, v162
	v_lshlrev_b64 v[0:1], 4, v[8:9]
	;; [unrolled: 15-line block ×5, first 2 shown]
	v_mad_u64_u32 v[8:9], s[0:1], s2, v5, 0
	v_add_co_u32_e64 v90, s[0:1], v10, v0
	v_mov_b32_e32 v2, v9
	v_addc_co_u32_e64 v91, s[0:1], v11, v1, s[0:1]
	v_lshlrev_b64 v[0:1], 4, v[3:4]
	v_mad_u64_u32 v[2:3], s[0:1], s3, v5, v[2:3]
	v_add_u32_e32 v5, 0x330, v162
	v_mad_u64_u32 v[3:4], s[0:1], s2, v5, 0
	v_add_co_u32_e64 v92, s[0:1], v10, v0
	v_mov_b32_e32 v9, v2
	v_mov_b32_e32 v2, v4
	v_addc_co_u32_e64 v93, s[0:1], v11, v1, s[0:1]
	v_mad_u64_u32 v[4:5], s[0:1], s3, v5, v[2:3]
	v_lshlrev_b64 v[0:1], 4, v[8:9]
	v_mov_b32_e32 v168, v164
	v_add_co_u32_e64 v94, s[0:1], v10, v0
	v_addc_co_u32_e64 v95, s[0:1], v11, v1, s[0:1]
	v_lshlrev_b64 v[0:1], 4, v[3:4]
	v_add_co_u32_e64 v96, s[0:1], v10, v0
	v_addc_co_u32_e64 v97, s[0:1], v11, v1, s[0:1]
	global_load_dwordx4 v[0:3], v[6:7], off
	global_load_dwordx4 v[40:43], v[12:13], off
	;; [unrolled: 1-line block ×15, first 2 shown]
                                        ; kill: killed $vgpr88 killed $vgpr89
                                        ; kill: killed $vgpr14 killed $vgpr15
                                        ; kill: killed $vgpr90 killed $vgpr91
                                        ; kill: killed $vgpr74 killed $vgpr75
                                        ; kill: killed $vgpr92 killed $vgpr93
                                        ; kill: killed $vgpr76 killed $vgpr77
                                        ; kill: killed $vgpr12 killed $vgpr13
                                        ; kill: killed $vgpr78 killed $vgpr79
                                        ; kill: killed $vgpr72 killed $vgpr73
                                        ; kill: killed $vgpr80 killed $vgpr81
                                        ; kill: killed $vgpr6 killed $vgpr7
                                        ; kill: killed $vgpr82 killed $vgpr83
                                        ; kill: killed $vgpr70 killed $vgpr71
                                        ; kill: killed $vgpr84 killed $vgpr85
                                        ; kill: killed $vgpr86 killed $vgpr87
	global_load_dwordx4 v[12:15], v[94:95], off
	global_load_dwordx4 v[4:7], v[96:97], off
.LBB0_13:
	s_or_b64 exec, exec, s[4:5]
	s_waitcnt vmcnt(15)
	v_add_f64 v[70:71], v[40:41], v[0:1]
	v_add_f64 v[72:73], v[42:43], v[2:3]
	s_waitcnt vmcnt(4)
	v_add_f64 v[92:93], v[66:67], -v[22:23]
	v_add_f64 v[102:103], v[24:25], v[56:57]
	v_add_f64 v[80:81], v[56:57], -v[24:25]
	v_add_f64 v[100:101], v[28:29], v[44:45]
	;; [unrolled: 2-line block ×3, first 2 shown]
	v_add_f64 v[74:75], v[48:49], v[70:71]
	v_add_f64 v[76:77], v[50:51], v[72:73]
	;; [unrolled: 1-line block ×3, first 2 shown]
	v_add_f64 v[72:73], v[36:37], -v[32:33]
	v_add_f64 v[86:87], v[38:39], -v[34:35]
	v_add_f64 v[78:79], v[26:27], v[58:59]
	v_add_f64 v[90:91], v[58:59], -v[26:27]
	v_add_f64 v[104:105], v[20:21], v[64:65]
	v_add_f64 v[82:83], v[52:53], v[74:75]
	;; [unrolled: 1-line block ×4, first 2 shown]
	v_add_f64 v[76:77], v[44:45], -v[28:29]
	s_waitcnt vmcnt(3)
	v_add_f64 v[106:107], v[16:17], v[60:61]
	s_waitcnt vmcnt(2)
	v_add_f64 v[108:109], v[8:9], v[52:53]
	v_add_f64 v[52:53], v[52:53], -v[8:9]
	s_mov_b32 s24, 0x370991
	v_add_f64 v[94:95], v[60:61], v[82:83]
	v_add_f64 v[96:97], v[62:63], v[84:85]
	;; [unrolled: 1-line block ×3, first 2 shown]
	v_add_f64 v[84:85], v[64:65], -v[20:21]
	v_add_f64 v[60:61], v[60:61], -v[16:17]
	s_mov_b32 s30, 0x5d8e7cdc
	s_mov_b32 s20, 0x75d4884
	;; [unrolled: 1-line block ×3, first 2 shown]
	v_add_f64 v[110:111], v[64:65], v[94:95]
	v_add_f64 v[66:67], v[66:67], v[96:97]
	;; [unrolled: 1-line block ×3, first 2 shown]
	v_add_f64 v[94:95], v[62:63], -v[18:19]
	v_add_f64 v[62:63], v[10:11], v[54:55]
	s_waitcnt vmcnt(1)
	v_add_f64 v[96:97], v[50:51], -v[14:15]
	s_mov_b32 s6, 0x3259b75e
	s_mov_b32 s10, 0xc61f0d01
	v_add_f64 v[56:57], v[56:57], v[110:111]
	v_add_f64 v[66:67], v[58:59], v[66:67]
	v_add_f64 v[58:59], v[54:55], -v[10:11]
	v_add_f64 v[54:55], v[14:15], v[50:51]
	s_waitcnt vmcnt(0)
	v_add_f64 v[50:51], v[4:5], v[40:41]
	v_add_f64 v[40:41], v[40:41], -v[4:5]
	s_mov_b32 s16, 0x6ed5f1bb
	s_mov_b32 s34, 0x910ea3b9
	v_add_f64 v[44:45], v[44:45], v[56:57]
	v_add_f64 v[46:47], v[46:47], v[66:67]
	s_mov_b32 s40, 0x7faef3
	s_mov_b32 s25, 0x3fedd6d0
	;; [unrolled: 1-line block ×6, first 2 shown]
	v_add_f64 v[36:37], v[36:37], v[44:45]
	v_add_f64 v[38:39], v[38:39], v[46:47]
	s_mov_b32 s7, 0x3fb79ee6
	s_mov_b32 s11, 0xbfd183b1
	;; [unrolled: 1-line block ×6, first 2 shown]
	v_add_f64 v[32:33], v[32:33], v[36:37]
	v_add_f64 v[34:35], v[34:35], v[38:39]
	;; [unrolled: 1-line block ×3, first 2 shown]
	v_add_f64 v[42:43], v[42:43], -v[6:7]
	s_mov_b32 s26, 0x2a9d6da3
	s_mov_b32 s18, 0x7c9e640b
	;; [unrolled: 1-line block ×4, first 2 shown]
	v_add_f64 v[28:29], v[28:29], v[32:33]
	v_add_f64 v[30:31], v[30:31], v[34:35]
	v_mul_f64 v[32:33], v[50:51], s[34:35]
	s_mov_b32 s44, 0x6c9a05f6
	s_mov_b32 s54, 0x4363dd80
	;; [unrolled: 1-line block ×5, first 2 shown]
	v_add_f64 v[24:25], v[24:25], v[28:29]
	v_add_f64 v[26:27], v[26:27], v[30:31]
	v_mul_f64 v[28:29], v[50:51], s[10:11]
	v_mul_f64 v[30:31], v[50:51], s[16:17]
	s_mov_b32 s19, 0x3feca52d
	s_mov_b32 s53, 0xbfeca52d
	s_mov_b32 s15, 0x3fefdd0d
	s_mov_b32 s43, 0xbfefdd0d
	v_add_f64 v[20:21], v[20:21], v[24:25]
	v_add_f64 v[22:23], v[22:23], v[26:27]
	v_mul_f64 v[24:25], v[50:51], s[24:25]
	v_mul_f64 v[26:27], v[50:51], s[6:7]
	s_mov_b32 s51, 0x3feec746
	s_mov_b32 s23, 0xbfeec746
	s_mov_b32 s45, 0x3fe9895b
	s_mov_b32 s29, 0xbfe9895b
	;; [unrolled: 8-line block ×3, first 2 shown]
	v_add_f64 v[8:9], v[8:9], v[16:17]
	v_add_f64 v[10:11], v[10:11], v[18:19]
	s_mov_b32 s28, s44
	s_mov_b32 s55, 0x3fe0d888
	;; [unrolled: 1-line block ×6, first 2 shown]
	v_add_f64 v[8:9], v[12:13], v[8:9]
	v_add_f64 v[10:11], v[14:15], v[10:11]
	s_mov_b32 s46, s56
	v_add_f64 v[114:115], v[12:13], v[48:49]
	v_add_f64 v[48:49], v[48:49], -v[12:13]
	v_fma_f64 v[16:17], v[42:43], s[30:31], v[24:25]
	v_fma_f64 v[18:19], v[42:43], s[36:37], v[24:25]
	;; [unrolled: 1-line block ×3, first 2 shown]
	v_add_f64 v[120:121], v[4:5], v[8:9]
	v_add_f64 v[56:57], v[6:7], v[10:11]
	v_mul_f64 v[4:5], v[50:51], s[40:41]
	v_mul_f64 v[6:7], v[40:41], s[36:37]
	v_fma_f64 v[20:21], v[42:43], s[48:49], v[20:21]
	v_fma_f64 v[34:35], v[42:43], s[18:19], v[22:23]
	;; [unrolled: 1-line block ×11, first 2 shown]
	v_mul_f64 v[14:15], v[40:41], s[48:49]
	v_mul_f64 v[32:33], v[40:41], s[52:53]
	v_fma_f64 v[122:123], v[42:43], s[56:57], v[4:5]
	v_fma_f64 v[124:125], v[42:43], s[46:47], v[4:5]
	;; [unrolled: 1-line block ×3, first 2 shown]
	v_fma_f64 v[38:39], v[66:67], s[24:25], -v[6:7]
	v_mul_f64 v[6:7], v[40:41], s[42:43]
	v_mul_f64 v[42:43], v[40:41], s[22:23]
	;; [unrolled: 1-line block ×5, first 2 shown]
	v_fma_f64 v[44:45], v[66:67], s[20:21], v[14:15]
	v_fma_f64 v[14:15], v[66:67], s[20:21], -v[14:15]
	v_fma_f64 v[46:47], v[66:67], s[4:5], v[32:33]
	v_fma_f64 v[32:33], v[66:67], s[4:5], -v[32:33]
	;; [unrolled: 2-line block ×3, first 2 shown]
	v_fma_f64 v[136:137], v[66:67], s[34:35], -v[110:111]
	v_fma_f64 v[138:139], v[66:67], s[40:41], v[40:41]
	v_add_f64 v[6:7], v[0:1], v[18:19]
	v_mul_f64 v[18:19], v[114:115], s[20:21]
	v_fma_f64 v[126:127], v[66:67], s[10:11], v[42:43]
	v_fma_f64 v[128:129], v[66:67], s[10:11], -v[42:43]
	v_fma_f64 v[130:131], v[66:67], s[16:17], v[50:51]
	v_fma_f64 v[132:133], v[66:67], s[16:17], -v[50:51]
	;; [unrolled: 2-line block ×3, first 2 shown]
	v_add_f64 v[142:143], v[0:1], v[16:17]
	v_add_f64 v[42:43], v[2:3], v[38:39]
	;; [unrolled: 1-line block ×24, first 2 shown]
	v_fma_f64 v[0:1], v[96:97], s[26:27], v[18:19]
	v_mul_f64 v[20:21], v[108:109], s[4:5]
	v_add_f64 v[4:5], v[2:3], v[4:5]
	v_add_f64 v[22:23], v[2:3], v[126:127]
	;; [unrolled: 1-line block ×8, first 2 shown]
	v_fma_f64 v[2:3], v[58:59], s[18:19], v[20:21]
	v_mul_f64 v[12:13], v[106:107], s[6:7]
	v_mul_f64 v[10:11], v[104:105], s[10:11]
	;; [unrolled: 1-line block ×4, first 2 shown]
	s_movk_i32 s0, 0x88
	v_mad_u32_u24 v169, v162, s0, 0
	v_mul_f64 v[128:129], v[108:109], s[16:17]
	v_add_f64 v[0:1], v[2:3], v[0:1]
	v_fma_f64 v[2:3], v[94:95], s[14:15], v[12:13]
	v_mul_f64 v[140:141], v[106:107], s[40:41]
	v_mul_f64 v[142:143], v[106:107], s[10:11]
	;; [unrolled: 1-line block ×5, first 2 shown]
	v_fma_f64 v[130:131], v[58:59], s[44:45], v[128:129]
	v_mul_f64 v[154:155], v[100:101], s[6:7]
	v_add_f64 v[0:1], v[2:3], v[0:1]
	v_fma_f64 v[2:3], v[92:93], s[50:51], v[10:11]
	v_fma_f64 v[18:19], v[96:97], s[48:49], v[18:19]
	;; [unrolled: 1-line block ×4, first 2 shown]
	s_movk_i32 s0, 0xf1
	v_add_f64 v[0:1], v[2:3], v[0:1]
	v_fma_f64 v[2:3], v[90:91], s[44:45], v[8:9]
	v_add_f64 v[6:7], v[18:19], v[6:7]
	v_fma_f64 v[18:19], v[58:59], s[52:53], v[20:21]
	v_fma_f64 v[8:9], v[90:91], s[28:29], v[8:9]
	v_add_f64 v[0:1], v[2:3], v[0:1]
	v_mul_f64 v[2:3], v[100:101], s[34:35]
	v_add_f64 v[6:7], v[18:19], v[6:7]
	v_fma_f64 v[122:123], v[88:89], s[54:55], v[2:3]
	v_add_f64 v[6:7], v[12:13], v[6:7]
	v_fma_f64 v[2:3], v[88:89], s[38:39], v[2:3]
	v_add_f64 v[122:123], v[122:123], v[0:1]
	v_mul_f64 v[0:1], v[98:99], s[40:41]
	v_add_f64 v[6:7], v[10:11], v[6:7]
	v_fma_f64 v[124:125], v[86:87], s[56:57], v[0:1]
	v_add_f64 v[6:7], v[8:9], v[6:7]
	v_fma_f64 v[0:1], v[86:87], s[46:47], v[0:1]
	v_add_f64 v[122:123], v[124:125], v[122:123]
	v_mul_f64 v[124:125], v[114:115], s[16:17]
	v_add_f64 v[2:3], v[2:3], v[6:7]
	ds_write2_b64 v169, v[120:121], v[122:123] offset1:1
	v_fma_f64 v[120:121], v[96:97], s[14:15], v[126:127]
	v_fma_f64 v[122:123], v[96:97], s[44:45], v[124:125]
	v_add_f64 v[0:1], v[0:1], v[2:3]
	v_add_f64 v[120:121], v[120:121], v[144:145]
	;; [unrolled: 1-line block ×3, first 2 shown]
	v_mul_f64 v[144:145], v[104:105], s[34:35]
	v_mul_f64 v[146:147], v[104:105], s[20:21]
	v_add_f64 v[120:121], v[130:131], v[120:121]
	v_mul_f64 v[130:131], v[108:109], s[40:41]
	v_fma_f64 v[132:133], v[58:59], s[46:47], v[130:131]
	v_add_f64 v[122:123], v[132:133], v[122:123]
	v_fma_f64 v[132:133], v[94:95], s[56:57], v[140:141]
	v_add_f64 v[120:121], v[132:133], v[120:121]
	;; [unrolled: 2-line block ×9, first 2 shown]
	v_mul_f64 v[120:121], v[98:99], s[24:25]
	v_fma_f64 v[122:123], v[86:87], s[36:37], v[120:121]
	v_add_f64 v[132:133], v[122:123], v[132:133]
	v_mul_f64 v[122:123], v[98:99], s[34:35]
	v_fma_f64 v[172:173], v[86:87], s[54:55], v[122:123]
	v_add_f64 v[134:135], v[172:173], v[134:135]
	v_mul_f64 v[172:173], v[114:115], s[40:41]
	ds_write2_b64 v169, v[132:133], v[134:135] offset0:2 offset1:3
	v_fma_f64 v[132:133], v[96:97], s[56:57], v[172:173]
	v_add_f64 v[132:133], v[132:133], v[156:157]
	v_mul_f64 v[156:157], v[114:115], s[34:35]
	v_fma_f64 v[134:135], v[96:97], s[38:39], v[156:157]
	v_add_f64 v[134:135], v[134:135], v[158:159]
	v_mul_f64 v[158:159], v[108:109], s[10:11]
	;; [unrolled: 3-line block ×15, first 2 shown]
	v_mul_f64 v[114:115], v[114:115], s[24:25]
	v_fma_f64 v[200:201], v[96:97], s[52:53], v[198:199]
	v_add_f64 v[170:171], v[200:201], v[170:171]
	v_mul_f64 v[200:201], v[108:109], s[24:25]
	v_fma_f64 v[202:203], v[58:59], s[30:31], v[200:201]
	v_add_f64 v[160:161], v[202:203], v[160:161]
	v_mul_f64 v[202:203], v[108:109], s[6:7]
	v_mul_f64 v[108:109], v[108:109], s[34:35]
	v_fma_f64 v[204:205], v[58:59], s[14:15], v[202:203]
	v_add_f64 v[170:171], v[204:205], v[170:171]
	v_mul_f64 v[204:205], v[106:107], s[34:35]
	v_fma_f64 v[206:207], v[94:95], s[54:55], v[204:205]
	v_add_f64 v[160:161], v[206:207], v[160:161]
	v_mul_f64 v[206:207], v[106:107], s[16:17]
	;; [unrolled: 7-line block ×6, first 2 shown]
	v_mul_f64 v[98:99], v[98:99], s[6:7]
	v_fma_f64 v[224:225], v[86:87], s[50:51], v[222:223]
	v_add_f64 v[170:171], v[224:225], v[170:171]
	v_fma_f64 v[224:225], v[96:97], s[36:37], v[114:115]
	v_fma_f64 v[114:115], v[96:97], s[30:31], v[114:115]
	v_add_f64 v[136:137], v[224:225], v[136:137]
	v_add_f64 v[114:115], v[114:115], v[138:139]
	v_fma_f64 v[138:139], v[58:59], s[54:55], v[108:109]
	v_fma_f64 v[108:109], v[58:59], s[38:39], v[108:109]
	v_add_f64 v[136:137], v[138:139], v[136:137]
	;; [unrolled: 4-line block ×4, first 2 shown]
	v_add_f64 v[104:105], v[104:105], v[106:107]
	v_fma_f64 v[106:107], v[90:91], s[52:53], v[102:103]
	v_fma_f64 v[102:103], v[90:91], s[18:19], v[102:103]
	v_mul_f64 v[114:115], v[60:61], s[42:43]
	v_add_f64 v[106:107], v[106:107], v[108:109]
	v_add_f64 v[102:103], v[102:103], v[104:105]
	v_fma_f64 v[104:105], v[88:89], s[50:51], v[100:101]
	v_fma_f64 v[100:101], v[88:89], s[22:23], v[100:101]
	;; [unrolled: 1-line block ×4, first 2 shown]
	v_add_f64 v[104:105], v[104:105], v[106:107]
	v_add_f64 v[100:101], v[100:101], v[102:103]
	v_fma_f64 v[102:103], v[86:87], s[42:43], v[98:99]
	v_fma_f64 v[98:99], v[86:87], s[14:15], v[98:99]
	;; [unrolled: 1-line block ×3, first 2 shown]
	v_add_f64 v[108:109], v[108:109], v[110:111]
	v_fma_f64 v[110:111], v[58:59], s[50:51], v[158:159]
	v_add_f64 v[102:103], v[102:103], v[104:105]
	v_add_f64 v[98:99], v[98:99], v[100:101]
	v_fma_f64 v[100:101], v[96:97], s[50:51], v[196:197]
	v_fma_f64 v[104:105], v[96:97], s[18:19], v[198:199]
	v_add_f64 v[100:101], v[100:101], v[118:119]
	v_add_f64 v[104:105], v[104:105], v[116:117]
	v_mul_f64 v[116:117], v[84:85], s[22:23]
	v_mul_f64 v[118:119], v[80:81], s[28:29]
	v_add_f64 v[100:101], v[106:107], v[100:101]
	v_fma_f64 v[106:107], v[58:59], s[42:43], v[202:203]
	v_fma_f64 v[10:11], v[82:83], s[10:11], v[116:117]
	;; [unrolled: 1-line block ×3, first 2 shown]
	v_add_f64 v[104:105], v[106:107], v[104:105]
	v_fma_f64 v[106:107], v[94:95], s[38:39], v[204:205]
	v_add_f64 v[100:101], v[106:107], v[100:101]
	v_fma_f64 v[106:107], v[94:95], s[44:45], v[206:207]
	;; [unrolled: 2-line block ×11, first 2 shown]
	v_lshl_add_u32 v172, v165, 3, 0
	v_lshl_add_u32 v173, v166, 3, 0
	v_add_f64 v[106:107], v[106:107], v[112:113]
	v_mul_f64 v[112:113], v[52:53], s[52:53]
	v_add_f64 v[106:107], v[110:111], v[106:107]
	v_fma_f64 v[110:111], v[58:59], s[26:27], v[174:175]
	v_fma_f64 v[18:19], v[62:63], s[4:5], v[112:113]
	v_lshlrev_b32_e32 v175, 7, v162
	v_lshl_add_u32 v174, v167, 3, 0
	v_add_f64 v[108:109], v[110:111], v[108:109]
	v_fma_f64 v[110:111], v[94:95], s[30:31], v[176:177]
	v_sub_u32_e32 v177, v169, v175
	v_add_u32_e32 v176, 0x800, v177
	v_add_f64 v[106:107], v[110:111], v[106:107]
	v_fma_f64 v[110:111], v[94:95], s[52:53], v[178:179]
	v_add_u32_e32 v178, 0xc00, v177
	v_add_u32_e32 v179, 0x1000, v177
	v_add_f64 v[108:109], v[110:111], v[108:109]
	v_fma_f64 v[110:111], v[92:93], s[52:53], v[180:181]
	v_add_f64 v[106:107], v[110:111], v[106:107]
	v_fma_f64 v[110:111], v[92:93], s[46:47], v[182:183]
	;; [unrolled: 2-line block ×10, first 2 shown]
	v_fma_f64 v[96:97], v[88:89], s[42:43], v[154:155]
	v_mul_f64 v[124:125], v[76:77], s[38:39]
	v_add_f64 v[14:15], v[110:111], v[14:15]
	v_fma_f64 v[110:111], v[58:59], s[28:29], v[128:129]
	v_fma_f64 v[6:7], v[74:75], s[34:35], v[124:125]
	v_add_f64 v[16:17], v[110:111], v[16:17]
	v_fma_f64 v[110:111], v[58:59], s[56:57], v[130:131]
	v_add_f64 v[14:15], v[110:111], v[14:15]
	;; [unrolled: 2-line block ×9, first 2 shown]
	v_add_f64 v[16:17], v[110:111], v[16:17]
	v_mul_f64 v[110:111], v[48:49], s[48:49]
	v_mul_f64 v[96:97], v[72:73], s[46:47]
	v_fma_f64 v[20:21], v[54:55], s[20:21], v[110:111]
	v_fma_f64 v[110:111], v[54:55], s[20:21], -v[110:111]
	v_add_f64 v[4:5], v[20:21], v[4:5]
	v_add_f64 v[42:43], v[110:111], v[42:43]
	v_mul_f64 v[110:111], v[48:49], s[18:19]
	v_add_f64 v[4:5], v[18:19], v[4:5]
	v_fma_f64 v[140:141], v[54:55], s[4:5], v[110:111]
	v_fma_f64 v[110:111], v[54:55], s[4:5], -v[110:111]
	v_add_f64 v[4:5], v[12:13], v[4:5]
	v_add_f64 v[30:31], v[140:141], v[30:31]
	;; [unrolled: 1-line block ×4, first 2 shown]
	v_fma_f64 v[10:11], v[86:87], s[38:39], v[122:123]
	v_add_f64 v[4:5], v[8:9], v[4:5]
	v_fma_f64 v[8:9], v[86:87], s[30:31], v[120:121]
	v_add_f64 v[10:11], v[10:11], v[14:15]
	v_add_f64 v[4:5], v[6:7], v[4:5]
	v_fma_f64 v[6:7], v[70:71], s[40:41], v[96:97]
	v_add_f64 v[8:9], v[8:9], v[16:17]
	ds_write2_b64 v169, v[132:133], v[134:135] offset0:4 offset1:5
	ds_write2_b64 v169, v[160:161], v[170:171] offset0:6 offset1:7
	ds_write2_b64 v169, v[102:103], v[98:99] offset0:8 offset1:9
	ds_write2_b64 v169, v[104:105], v[100:101] offset0:10 offset1:11
	ds_write2_b64 v169, v[108:109], v[106:107] offset0:12 offset1:13
	ds_write2_b64 v169, v[10:11], v[8:9] offset0:14 offset1:15
	v_lshl_add_u32 v171, v168, 3, 0
	ds_write_b64 v169, v[0:1] offset:128
	s_waitcnt lgkmcnt(0)
	v_add_f64 v[98:99], v[6:7], v[4:5]
	; wave barrier
	v_lshl_add_u32 v170, v163, 3, 0
	ds_read_b64 v[88:89], v171
	ds_read_b64 v[86:87], v172
	;; [unrolled: 1-line block ×4, first 2 shown]
	ds_read_b64 v[90:91], v177 offset:6528
	ds_read_b64 v[20:21], v177
	ds_read_b64 v[58:59], v170
	ds_read2_b64 v[16:19], v176 offset0:50 offset1:101
	ds_read2_b64 v[12:15], v176 offset0:152 offset1:203
	;; [unrolled: 1-line block ×5, first 2 shown]
	s_waitcnt lgkmcnt(0)
	; wave barrier
	s_waitcnt lgkmcnt(0)
	ds_write2_b64 v169, v[56:57], v[98:99] offset1:1
	v_mul_f64 v[56:57], v[48:49], s[42:43]
	v_fma_f64 v[98:99], v[54:55], s[6:7], v[56:57]
	v_fma_f64 v[56:57], v[54:55], s[6:7], -v[56:57]
	v_add_f64 v[66:67], v[98:99], v[66:67]
	v_mul_f64 v[98:99], v[48:49], s[28:29]
	v_add_f64 v[44:45], v[56:57], v[44:45]
	v_fma_f64 v[100:101], v[54:55], s[16:17], v[98:99]
	v_fma_f64 v[56:57], v[54:55], s[16:17], -v[98:99]
	v_add_f64 v[50:51], v[100:101], v[50:51]
	v_mul_f64 v[100:101], v[52:53], s[28:29]
	v_add_f64 v[46:47], v[56:57], v[46:47]
	v_mul_f64 v[56:57], v[48:49], s[46:47]
	v_fma_f64 v[102:103], v[62:63], s[16:17], v[100:101]
	v_fma_f64 v[98:99], v[54:55], s[40:41], v[56:57]
	v_fma_f64 v[56:57], v[54:55], s[40:41], -v[56:57]
	v_add_f64 v[66:67], v[102:103], v[66:67]
	v_mul_f64 v[102:103], v[52:53], s[56:57]
	v_add_f64 v[40:41], v[98:99], v[40:41]
	v_add_f64 v[38:39], v[56:57], v[38:39]
	v_mul_f64 v[56:57], v[48:49], s[54:55]
	v_mul_f64 v[98:99], v[48:49], s[50:51]
	;; [unrolled: 1-line block ×3, first 2 shown]
	v_fma_f64 v[104:105], v[62:63], s[40:41], v[102:103]
	v_fma_f64 v[138:139], v[54:55], s[10:11], v[98:99]
	;; [unrolled: 1-line block ×3, first 2 shown]
	v_fma_f64 v[48:49], v[54:55], s[24:25], -v[48:49]
	v_fma_f64 v[98:99], v[54:55], s[10:11], -v[98:99]
	v_add_f64 v[50:51], v[104:105], v[50:51]
	v_mul_f64 v[104:105], v[60:61], s[46:47]
	v_add_f64 v[26:27], v[138:139], v[26:27]
	v_add_f64 v[34:35], v[142:143], v[34:35]
	;; [unrolled: 1-line block ×3, first 2 shown]
	v_fma_f64 v[48:49], v[62:63], s[4:5], -v[112:113]
	v_add_f64 v[28:29], v[98:99], v[28:29]
	v_fma_f64 v[106:107], v[64:65], s[40:41], v[104:105]
	v_add_f64 v[42:43], v[48:49], v[42:43]
	v_fma_f64 v[48:49], v[62:63], s[16:17], -v[100:101]
	v_add_f64 v[66:67], v[106:107], v[66:67]
	v_mul_f64 v[106:107], v[60:61], s[50:51]
	v_add_f64 v[44:45], v[48:49], v[44:45]
	v_fma_f64 v[48:49], v[62:63], s[40:41], -v[102:103]
	v_fma_f64 v[108:109], v[64:65], s[10:11], v[106:107]
	v_add_f64 v[46:47], v[48:49], v[46:47]
	v_add_f64 v[50:51], v[108:109], v[50:51]
	v_mul_f64 v[108:109], v[84:85], s[54:55]
	v_mul_f64 v[48:49], v[52:53], s[50:51]
	v_fma_f64 v[120:121], v[82:83], s[34:35], v[108:109]
	v_add_f64 v[66:67], v[120:121], v[66:67]
	v_mul_f64 v[120:121], v[84:85], s[26:27]
	v_fma_f64 v[122:123], v[82:83], s[20:21], v[120:121]
	v_add_f64 v[50:51], v[122:123], v[50:51]
	;; [unrolled: 3-line block ×8, first 2 shown]
	v_fma_f64 v[136:137], v[54:55], s[34:35], v[56:57]
	v_fma_f64 v[56:57], v[54:55], s[34:35], -v[56:57]
	v_fma_f64 v[54:55], v[62:63], s[10:11], v[48:49]
	v_fma_f64 v[48:49], v[62:63], s[10:11], -v[48:49]
	v_add_f64 v[22:23], v[136:137], v[22:23]
	v_add_f64 v[24:25], v[56:57], v[24:25]
	;; [unrolled: 1-line block ×4, first 2 shown]
	v_mul_f64 v[48:49], v[52:53], s[26:27]
	v_mul_f64 v[54:55], v[52:53], s[36:37]
	;; [unrolled: 1-line block ×4, first 2 shown]
	v_fma_f64 v[98:99], v[62:63], s[20:21], v[48:49]
	v_fma_f64 v[48:49], v[62:63], s[20:21], -v[48:49]
	v_fma_f64 v[100:101], v[62:63], s[24:25], v[54:55]
	v_fma_f64 v[110:111], v[62:63], s[34:35], v[52:53]
	v_fma_f64 v[52:53], v[62:63], s[34:35], -v[52:53]
	v_fma_f64 v[54:55], v[62:63], s[24:25], -v[54:55]
	v_fma_f64 v[102:103], v[62:63], s[6:7], v[56:57]
	v_fma_f64 v[56:57], v[62:63], s[6:7], -v[56:57]
	v_add_f64 v[22:23], v[98:99], v[22:23]
	v_add_f64 v[24:25], v[48:49], v[24:25]
	v_fma_f64 v[48:49], v[64:65], s[6:7], -v[114:115]
	v_add_f64 v[26:27], v[100:101], v[26:27]
	v_add_f64 v[36:37], v[52:53], v[36:37]
	;; [unrolled: 1-line block ×3, first 2 shown]
	v_mul_f64 v[54:55], v[60:61], s[44:45]
	v_add_f64 v[32:33], v[56:57], v[32:33]
	v_mul_f64 v[56:57], v[60:61], s[26:27]
	v_add_f64 v[30:31], v[102:103], v[30:31]
	v_add_f64 v[42:43], v[48:49], v[42:43]
	v_fma_f64 v[48:49], v[64:65], s[40:41], -v[104:105]
	v_add_f64 v[34:35], v[110:111], v[34:35]
	v_fma_f64 v[98:99], v[64:65], s[16:17], v[54:55]
	v_fma_f64 v[54:55], v[64:65], s[16:17], -v[54:55]
	v_fma_f64 v[100:101], v[64:65], s[20:21], v[56:57]
	v_fma_f64 v[56:57], v[64:65], s[20:21], -v[56:57]
	v_add_f64 v[44:45], v[48:49], v[44:45]
	v_fma_f64 v[48:49], v[64:65], s[10:11], -v[106:107]
	v_add_f64 v[30:31], v[98:99], v[30:31]
	v_add_f64 v[32:33], v[54:55], v[32:33]
	v_mul_f64 v[54:55], v[84:85], s[36:37]
	v_add_f64 v[36:37], v[56:57], v[36:37]
	v_mul_f64 v[56:57], v[84:85], s[28:29]
	v_add_f64 v[34:35], v[100:101], v[34:35]
	v_add_f64 v[46:47], v[48:49], v[46:47]
	v_mul_f64 v[48:49], v[60:61], s[30:31]
	v_fma_f64 v[52:53], v[64:65], s[24:25], v[48:49]
	v_fma_f64 v[48:49], v[64:65], s[24:25], -v[48:49]
	v_add_f64 v[40:41], v[52:53], v[40:41]
	v_add_f64 v[38:39], v[48:49], v[38:39]
	v_mul_f64 v[48:49], v[60:61], s[52:53]
	v_mul_f64 v[52:53], v[60:61], s[38:39]
	v_fma_f64 v[60:61], v[64:65], s[4:5], v[48:49]
	v_fma_f64 v[48:49], v[64:65], s[4:5], -v[48:49]
	v_fma_f64 v[62:63], v[64:65], s[34:35], v[52:53]
	v_fma_f64 v[52:53], v[64:65], s[34:35], -v[52:53]
	;; [unrolled: 2-line block ×3, first 2 shown]
	v_add_f64 v[22:23], v[60:61], v[22:23]
	v_add_f64 v[24:25], v[48:49], v[24:25]
	v_fma_f64 v[48:49], v[82:83], s[10:11], -v[116:117]
	v_add_f64 v[28:29], v[52:53], v[28:29]
	v_add_f64 v[26:27], v[62:63], v[26:27]
	;; [unrolled: 1-line block ×3, first 2 shown]
	v_fma_f64 v[54:55], v[78:79], s[10:11], -v[122:123]
	v_add_f64 v[30:31], v[64:65], v[30:31]
	v_add_f64 v[42:43], v[48:49], v[42:43]
	v_fma_f64 v[48:49], v[82:83], s[34:35], -v[108:109]
	v_add_f64 v[44:45], v[48:49], v[44:45]
	v_fma_f64 v[48:49], v[82:83], s[20:21], -v[120:121]
	v_add_f64 v[44:45], v[54:55], v[44:45]
	v_add_f64 v[46:47], v[48:49], v[46:47]
	v_mul_f64 v[48:49], v[84:85], s[52:53]
	v_mul_f64 v[54:55], v[80:81], s[48:49]
	v_fma_f64 v[52:53], v[82:83], s[4:5], v[48:49]
	v_fma_f64 v[48:49], v[82:83], s[4:5], -v[48:49]
	v_add_f64 v[40:41], v[52:53], v[40:41]
	v_add_f64 v[38:39], v[48:49], v[38:39]
	v_mul_f64 v[48:49], v[84:85], s[46:47]
	v_mul_f64 v[52:53], v[84:85], s[14:15]
	v_fma_f64 v[84:85], v[82:83], s[16:17], v[56:57]
	v_fma_f64 v[56:57], v[82:83], s[16:17], -v[56:57]
	v_fma_f64 v[60:61], v[82:83], s[40:41], v[48:49]
	v_fma_f64 v[48:49], v[82:83], s[40:41], -v[48:49]
	;; [unrolled: 2-line block ×3, first 2 shown]
	v_add_f64 v[36:37], v[56:57], v[36:37]
	v_add_f64 v[34:35], v[84:85], v[34:35]
	;; [unrolled: 1-line block ×4, first 2 shown]
	v_mul_f64 v[48:49], v[80:81], s[38:39]
	v_add_f64 v[28:29], v[52:53], v[28:29]
	v_fma_f64 v[52:53], v[78:79], s[16:17], -v[118:119]
	v_fma_f64 v[60:61], v[78:79], s[24:25], -v[126:127]
	v_add_f64 v[26:27], v[62:63], v[26:27]
	v_fma_f64 v[62:63], v[78:79], s[20:21], v[54:55]
	v_fma_f64 v[54:55], v[78:79], s[20:21], -v[54:55]
	v_fma_f64 v[56:57], v[78:79], s[34:35], v[48:49]
	v_fma_f64 v[48:49], v[78:79], s[34:35], -v[48:49]
	v_add_f64 v[42:43], v[52:53], v[42:43]
	v_mul_f64 v[52:53], v[80:81], s[14:15]
	v_add_f64 v[46:47], v[60:61], v[46:47]
	v_mul_f64 v[60:61], v[80:81], s[46:47]
	v_add_f64 v[28:29], v[54:55], v[28:29]
	v_fma_f64 v[54:55], v[74:75], s[4:5], -v[128:129]
	v_add_f64 v[40:41], v[56:57], v[40:41]
	v_mul_f64 v[56:57], v[80:81], s[18:19]
	v_add_f64 v[38:39], v[48:49], v[38:39]
	v_fma_f64 v[48:49], v[78:79], s[6:7], v[52:53]
	v_fma_f64 v[52:53], v[78:79], s[6:7], -v[52:53]
	v_fma_f64 v[64:65], v[78:79], s[40:41], v[60:61]
	v_fma_f64 v[60:61], v[78:79], s[40:41], -v[60:61]
	v_add_f64 v[44:45], v[54:55], v[44:45]
	v_mul_f64 v[54:55], v[76:77], s[46:47]
	v_fma_f64 v[80:81], v[78:79], s[4:5], v[56:57]
	v_fma_f64 v[56:57], v[78:79], s[4:5], -v[56:57]
	v_add_f64 v[22:23], v[48:49], v[22:23]
	v_add_f64 v[24:25], v[52:53], v[24:25]
	v_mul_f64 v[48:49], v[76:77], s[44:45]
	v_fma_f64 v[52:53], v[74:75], s[34:35], -v[124:125]
	v_add_f64 v[32:33], v[60:61], v[32:33]
	v_fma_f64 v[60:61], v[74:75], s[6:7], -v[130:131]
	v_mul_f64 v[78:79], v[72:73], s[26:27]
	v_add_f64 v[36:37], v[56:57], v[36:37]
	v_add_f64 v[30:31], v[64:65], v[30:31]
	;; [unrolled: 1-line block ×3, first 2 shown]
	v_fma_f64 v[56:57], v[74:75], s[16:17], v[48:49]
	v_add_f64 v[42:43], v[52:53], v[42:43]
	v_fma_f64 v[48:49], v[74:75], s[16:17], -v[48:49]
	v_mul_f64 v[52:53], v[76:77], s[36:37]
	v_add_f64 v[46:47], v[60:61], v[46:47]
	v_mul_f64 v[60:61], v[76:77], s[26:27]
	v_fma_f64 v[62:63], v[74:75], s[40:41], v[54:55]
	v_fma_f64 v[54:55], v[74:75], s[40:41], -v[54:55]
	v_add_f64 v[40:41], v[56:57], v[40:41]
	v_mul_f64 v[56:57], v[76:77], s[22:23]
	v_add_f64 v[38:39], v[48:49], v[38:39]
	v_fma_f64 v[48:49], v[74:75], s[24:25], v[52:53]
	v_fma_f64 v[52:53], v[74:75], s[24:25], -v[52:53]
	v_fma_f64 v[64:65], v[74:75], s[20:21], v[60:61]
	v_fma_f64 v[60:61], v[74:75], s[20:21], -v[60:61]
	v_add_f64 v[34:35], v[80:81], v[34:35]
	v_add_f64 v[28:29], v[54:55], v[28:29]
	v_fma_f64 v[76:77], v[74:75], s[10:11], v[56:57]
	v_fma_f64 v[56:57], v[74:75], s[10:11], -v[56:57]
	v_add_f64 v[22:23], v[48:49], v[22:23]
	v_fma_f64 v[48:49], v[70:71], s[24:25], -v[132:133]
	v_add_f64 v[24:25], v[52:53], v[24:25]
	v_fma_f64 v[52:53], v[70:71], s[20:21], v[78:79]
	v_add_f64 v[32:33], v[60:61], v[32:33]
	v_mul_f64 v[60:61], v[72:73], s[14:15]
	v_fma_f64 v[54:55], v[70:71], s[20:21], -v[78:79]
	v_add_f64 v[36:37], v[56:57], v[36:37]
	v_mul_f64 v[56:57], v[72:73], s[18:19]
	v_add_f64 v[44:45], v[48:49], v[44:45]
	v_mul_f64 v[48:49], v[72:73], s[28:29]
	v_add_f64 v[40:41], v[52:53], v[40:41]
	v_mul_f64 v[52:53], v[72:73], s[22:23]
	v_add_f64 v[30:31], v[64:65], v[30:31]
	v_add_f64 v[26:27], v[62:63], v[26:27]
	;; [unrolled: 1-line block ×3, first 2 shown]
	v_fma_f64 v[72:73], v[70:71], s[4:5], v[56:57]
	v_fma_f64 v[76:77], v[70:71], s[6:7], v[60:61]
	v_fma_f64 v[64:65], v[70:71], s[16:17], v[48:49]
	v_fma_f64 v[60:61], v[70:71], s[6:7], -v[60:61]
	v_fma_f64 v[74:75], v[70:71], s[10:11], v[52:53]
	v_fma_f64 v[56:57], v[70:71], s[4:5], -v[56:57]
	v_fma_f64 v[52:53], v[70:71], s[10:11], -v[52:53]
	;; [unrolled: 1-line block ×4, first 2 shown]
	v_add_f64 v[38:39], v[54:55], v[38:39]
	v_fma_f64 v[54:55], v[70:71], s[40:41], -v[96:97]
	v_add_f64 v[22:23], v[64:65], v[22:23]
	v_add_f64 v[26:27], v[72:73], v[26:27]
	;; [unrolled: 1-line block ×10, first 2 shown]
	ds_write2_b64 v169, v[66:67], v[50:51] offset0:2 offset1:3
	ds_write2_b64 v169, v[40:41], v[22:23] offset0:4 offset1:5
	;; [unrolled: 1-line block ×7, first 2 shown]
	ds_write_b64 v169, v[42:43] offset:128
	v_mul_lo_u16_sdwa v22, v162, s0 dst_sel:DWORD dst_unused:UNUSED_PAD src0_sel:BYTE_0 src1_sel:DWORD
	v_lshrrev_b16_e32 v98, 12, v22
	v_mul_lo_u16_e32 v22, 17, v98
	v_sub_u16_e32 v99, v162, v22
	v_mov_b32_e32 v22, 8
	v_lshlrev_b32_sdwa v82, v22, v99 dst_sel:DWORD dst_unused:UNUSED_PAD src0_sel:DWORD src1_sel:BYTE_0
	s_waitcnt lgkmcnt(0)
	; wave barrier
	s_waitcnt lgkmcnt(0)
	global_load_dwordx4 v[22:25], v82, s[8:9] offset:80
	global_load_dwordx4 v[26:29], v82, s[8:9] offset:96
	;; [unrolled: 1-line block ×8, first 2 shown]
	ds_read2_b64 v[64:67], v176 offset0:50 offset1:101
	global_load_dwordx4 v[70:73], v82, s[8:9] offset:208
	global_load_dwordx4 v[78:81], v82, s[8:9]
	global_load_dwordx4 v[100:103], v82, s[8:9] offset:240
	global_load_dwordx4 v[104:107], v82, s[8:9] offset:224
	ds_read2_b64 v[74:77], v176 offset0:152 offset1:203
	global_load_dwordx4 v[114:117], v82, s[8:9] offset:48
	global_load_dwordx4 v[118:121], v82, s[8:9] offset:64
	v_mul_u32_u24_e32 v98, 0x908, v98
	v_cmp_gt_u32_e64 s[0:1], 34, v162
	s_waitcnt vmcnt(13) lgkmcnt(1)
	v_mul_f64 v[30:31], v[64:65], v[24:25]
	v_mul_f64 v[24:25], v[16:17], v[24:25]
	s_waitcnt vmcnt(12)
	v_mul_f64 v[32:33], v[66:67], v[28:29]
	v_fma_f64 v[34:35], v[16:17], v[22:23], -v[30:31]
	v_mul_f64 v[16:17], v[18:19], v[28:29]
	v_fma_f64 v[32:33], v[18:19], v[26:27], -v[32:33]
	v_fma_f64 v[40:41], v[64:65], v[22:23], v[24:25]
	s_waitcnt vmcnt(11) lgkmcnt(0)
	v_mul_f64 v[22:23], v[74:75], v[38:39]
	s_waitcnt vmcnt(10)
	v_mul_f64 v[28:29], v[76:77], v[44:45]
	v_fma_f64 v[30:31], v[66:67], v[26:27], v[16:17]
	global_load_dwordx4 v[16:19], v82, s[8:9] offset:16
	global_load_dwordx4 v[64:67], v82, s[8:9] offset:32
	v_mul_f64 v[26:27], v[12:13], v[38:39]
	v_fma_f64 v[24:25], v[12:13], v[36:37], -v[22:23]
	v_fma_f64 v[28:29], v[14:15], v[42:43], -v[28:29]
	v_fma_f64 v[22:23], v[74:75], v[36:37], v[26:27]
	v_mul_f64 v[26:27], v[14:15], v[44:45]
	ds_read2_b64 v[12:15], v178 offset0:126 offset1:177
	s_waitcnt vmcnt(11) lgkmcnt(0)
	v_mul_f64 v[36:37], v[12:13], v[48:49]
	v_fma_f64 v[26:27], v[76:77], v[42:43], v[26:27]
	v_mul_f64 v[42:43], v[8:9], v[48:49]
	v_fma_f64 v[38:39], v[8:9], v[46:47], -v[36:37]
	s_waitcnt vmcnt(10)
	v_mul_f64 v[8:9], v[14:15], v[52:53]
	v_fma_f64 v[36:37], v[12:13], v[46:47], v[42:43]
	v_mul_f64 v[12:13], v[10:11], v[52:53]
	v_fma_f64 v[42:43], v[10:11], v[50:51], -v[8:9]
	ds_read2_b64 v[8:11], v179 offset0:100 offset1:151
	v_fma_f64 v[44:45], v[14:15], v[50:51], v[12:13]
	s_waitcnt vmcnt(9)
	v_mul_f64 v[14:15], v[4:5], v[56:57]
	s_waitcnt lgkmcnt(0)
	v_mul_f64 v[12:13], v[8:9], v[56:57]
	s_waitcnt vmcnt(8)
	v_mul_f64 v[50:51], v[10:11], v[62:63]
	v_fma_f64 v[46:47], v[8:9], v[54:55], v[14:15]
	s_waitcnt vmcnt(7)
	v_mul_f64 v[8:9], v[0:1], v[72:73]
	v_fma_f64 v[48:49], v[4:5], v[54:55], -v[12:13]
	ds_read2_b64 v[12:15], v179 offset0:202 offset1:253
	v_fma_f64 v[50:51], v[6:7], v[60:61], -v[50:51]
	v_mul_f64 v[4:5], v[6:7], v[62:63]
	s_waitcnt lgkmcnt(0)
	v_mul_f64 v[6:7], v[12:13], v[72:73]
	v_fma_f64 v[56:57], v[12:13], v[70:71], v[8:9]
	s_waitcnt vmcnt(4)
	v_mul_f64 v[8:9], v[2:3], v[106:107]
	v_fma_f64 v[52:53], v[10:11], v[60:61], v[4:5]
	ds_read_b64 v[4:5], v171
	ds_read_b64 v[10:11], v177 offset:6528
	v_fma_f64 v[76:77], v[0:1], v[70:71], -v[6:7]
	v_mul_f64 v[0:1], v[88:89], v[80:81]
	v_mul_f64 v[6:7], v[90:91], v[102:103]
	v_fma_f64 v[60:61], v[14:15], v[104:105], v[8:9]
	ds_read_b64 v[8:9], v172
	s_waitcnt lgkmcnt(2)
	v_mul_f64 v[12:13], v[4:5], v[80:81]
	v_fma_f64 v[84:85], v[4:5], v[78:79], v[0:1]
	s_waitcnt lgkmcnt(1)
	v_mul_f64 v[0:1], v[10:11], v[102:103]
	v_fma_f64 v[54:55], v[10:11], v[100:101], v[6:7]
	v_mul_f64 v[6:7], v[14:15], v[106:107]
	v_fma_f64 v[88:89], v[88:89], v[78:79], -v[12:13]
	v_add_f64 v[14:15], v[30:31], -v[36:37]
	s_waitcnt vmcnt(1)
	v_mul_f64 v[4:5], v[86:87], v[18:19]
	v_fma_f64 v[90:91], v[90:91], v[100:101], -v[0:1]
	v_add_f64 v[110:111], v[84:85], -v[54:55]
	s_waitcnt lgkmcnt(0)
	v_mul_f64 v[0:1], v[8:9], v[18:19]
	v_fma_f64 v[82:83], v[2:3], v[104:105], -v[6:7]
	s_waitcnt vmcnt(0)
	v_mul_f64 v[2:3], v[92:93], v[66:67]
	v_mul_f64 v[126:127], v[14:15], s[18:19]
	;; [unrolled: 1-line block ×3, first 2 shown]
	v_fma_f64 v[78:79], v[8:9], v[16:17], v[4:5]
	ds_read_b64 v[4:5], v173
	ds_read_b64 v[6:7], v174
	v_add_f64 v[106:107], v[88:89], v[90:91]
	v_mul_f64 v[108:109], v[110:111], s[36:37]
	v_fma_f64 v[86:87], v[86:87], v[16:17], -v[0:1]
	s_waitcnt lgkmcnt(1)
	v_mul_f64 v[0:1], v[4:5], v[66:67]
	v_fma_f64 v[80:81], v[4:5], v[64:65], v[2:3]
	s_waitcnt lgkmcnt(0)
	v_mul_f64 v[2:3], v[6:7], v[116:117]
	v_add_f64 v[112:113], v[78:79], -v[60:61]
	v_mul_f64 v[4:5], v[94:95], v[116:117]
	ds_read_b64 v[8:9], v170
	v_fma_f64 v[10:11], v[106:107], s[24:25], -v[108:109]
	v_add_f64 v[100:101], v[86:87], v[82:83]
	v_fma_f64 v[92:93], v[92:93], v[64:65], -v[0:1]
	v_add_f64 v[116:117], v[80:81], -v[56:57]
	v_fma_f64 v[74:75], v[94:95], v[114:115], -v[2:3]
	v_mul_f64 v[102:103], v[112:113], s[48:49]
	v_fma_f64 v[72:73], v[6:7], v[114:115], v[4:5]
	v_mul_f64 v[2:3], v[58:59], v[120:121]
	s_waitcnt lgkmcnt(0)
	v_mul_f64 v[0:1], v[8:9], v[120:121]
	v_add_f64 v[4:5], v[20:21], v[10:11]
	v_add_f64 v[70:71], v[92:93], v[76:77]
	v_mul_f64 v[96:97], v[116:117], s[52:53]
	v_add_f64 v[94:95], v[40:41], -v[44:45]
	v_fma_f64 v[6:7], v[100:101], s[20:21], -v[102:103]
	v_add_f64 v[114:115], v[72:73], -v[52:53]
	v_fma_f64 v[62:63], v[8:9], v[118:119], v[2:3]
	v_fma_f64 v[64:65], v[58:59], v[118:119], -v[0:1]
	v_add_f64 v[58:59], v[74:75], v[50:51]
	v_add_f64 v[10:11], v[34:35], v[42:43]
	v_fma_f64 v[2:3], v[70:71], s[4:5], -v[96:97]
	v_mul_f64 v[12:13], v[94:95], s[28:29]
	v_add_f64 v[0:1], v[6:7], v[4:5]
	v_mul_f64 v[66:67], v[114:115], s[42:43]
	v_add_f64 v[104:105], v[62:63], -v[46:47]
	v_add_f64 v[16:17], v[64:65], v[48:49]
	v_add_f64 v[6:7], v[32:33], v[38:39]
	v_mul_f64 v[8:9], v[14:15], s[38:39]
	v_add_f64 v[4:5], v[22:23], -v[26:27]
	v_mul_f64 v[181:182], v[110:111], s[48:49]
	v_add_f64 v[0:1], v[2:3], v[0:1]
	v_fma_f64 v[2:3], v[58:59], s[6:7], -v[66:67]
	v_mul_f64 v[18:19], v[104:105], s[22:23]
	v_mul_f64 v[152:153], v[112:113], s[42:43]
	;; [unrolled: 1-line block ×7, first 2 shown]
	v_add_f64 v[0:1], v[2:3], v[0:1]
	v_fma_f64 v[2:3], v[16:17], s[10:11], -v[18:19]
	v_mul_f64 v[144:145], v[114:115], s[50:51]
	v_mul_f64 v[134:135], v[104:105], s[54:55]
	v_fma_f64 v[122:123], v[100:101], s[16:17], -v[156:157]
	v_mul_f64 v[136:137], v[104:105], s[26:27]
	v_mul_f64 v[130:131], v[94:95], s[50:51]
	v_mul_f64 v[132:133], v[94:95], s[36:37]
	v_mul_f64 v[185:186], v[110:111], s[42:43]
	v_add_f64 v[0:1], v[2:3], v[0:1]
	v_fma_f64 v[2:3], v[10:11], s[16:17], -v[12:13]
	v_mul_f64 v[187:188], v[112:113], s[46:47]
	v_mul_f64 v[189:190], v[110:111], s[22:23]
	;; [unrolled: 1-line block ×7, first 2 shown]
	v_add_f64 v[0:1], v[2:3], v[0:1]
	v_fma_f64 v[2:3], v[6:7], s[34:35], -v[8:9]
	v_fma_f64 v[142:143], v[100:101], s[40:41], -v[187:188]
	;; [unrolled: 1-line block ×3, first 2 shown]
	v_mul_f64 v[201:202], v[104:105], s[52:53]
	v_mul_f64 v[203:204], v[104:105], s[46:47]
	;; [unrolled: 1-line block ×5, first 2 shown]
	v_add_f64 v[118:119], v[2:3], v[0:1]
	v_add_f64 v[0:1], v[24:25], v[28:29]
	v_mul_f64 v[2:3], v[4:5], s[46:47]
	v_mul_f64 v[160:161], v[14:15], s[36:37]
	;; [unrolled: 1-line block ×5, first 2 shown]
	v_fma_f64 v[108:109], v[106:107], s[24:25], v[108:109]
	v_fma_f64 v[187:188], v[100:101], s[40:41], v[187:188]
	;; [unrolled: 1-line block ×3, first 2 shown]
	v_fma_f64 v[120:121], v[0:1], s[40:41], -v[2:3]
	v_fma_f64 v[102:103], v[100:101], s[20:21], v[102:103]
	v_fma_f64 v[215:216], v[100:101], s[10:11], -v[213:214]
	v_fma_f64 v[221:222], v[100:101], s[4:5], -v[219:220]
	;; [unrolled: 1-line block ×3, first 2 shown]
	v_fma_f64 v[112:113], v[100:101], s[24:25], v[112:113]
	v_add_f64 v[108:109], v[20:21], v[108:109]
	v_fma_f64 v[96:97], v[70:71], s[4:5], v[96:97]
	v_add_f64 v[118:119], v[120:121], v[118:119]
	v_mov_b32_e32 v120, 3
	v_lshlrev_b32_sdwa v99, v120, v99 dst_sel:DWORD dst_unused:UNUSED_PAD src0_sel:DWORD src1_sel:BYTE_0
	v_add3_u32 v180, 0, v98, v99
	v_add_f64 v[98:99], v[20:21], v[88:89]
	v_fma_f64 v[66:67], v[58:59], s[6:7], v[66:67]
	v_add_f64 v[102:103], v[102:103], v[108:109]
	v_fma_f64 v[18:19], v[16:17], s[10:11], v[18:19]
	v_fma_f64 v[12:13], v[10:11], s[16:17], v[12:13]
	;; [unrolled: 1-line block ×3, first 2 shown]
	v_add_f64 v[98:99], v[98:99], v[86:87]
	v_add_f64 v[96:97], v[96:97], v[102:103]
	;; [unrolled: 1-line block ×20, first 2 shown]
	ds_read_b64 v[98:99], v177
	s_waitcnt lgkmcnt(0)
	; wave barrier
	s_waitcnt lgkmcnt(0)
	ds_write2_b64 v180, v[120:121], v[118:119] offset1:17
	v_fma_f64 v[118:119], v[106:107], s[20:21], -v[181:182]
	v_fma_f64 v[120:121], v[100:101], s[6:7], -v[152:153]
	v_fma_f64 v[181:182], v[106:107], s[20:21], v[181:182]
	v_fma_f64 v[152:153], v[100:101], s[6:7], v[152:153]
	v_add_f64 v[118:119], v[20:21], v[118:119]
	v_add_f64 v[181:182], v[20:21], v[181:182]
	;; [unrolled: 1-line block ×3, first 2 shown]
	v_fma_f64 v[120:121], v[106:107], s[4:5], -v[183:184]
	v_add_f64 v[108:109], v[152:153], v[181:182]
	v_fma_f64 v[181:182], v[70:71], s[20:21], v[195:196]
	v_add_f64 v[120:121], v[20:21], v[120:121]
	v_add_f64 v[120:121], v[122:123], v[120:121]
	v_fma_f64 v[122:123], v[70:71], s[16:17], -v[150:151]
	v_fma_f64 v[150:151], v[70:71], s[16:17], v[150:151]
	v_add_f64 v[118:119], v[122:123], v[118:119]
	v_fma_f64 v[122:123], v[70:71], s[40:41], -v[154:155]
	v_add_f64 v[102:103], v[150:151], v[108:109]
	v_fma_f64 v[150:151], v[58:59], s[4:5], v[199:200]
	v_add_f64 v[120:121], v[122:123], v[120:121]
	v_fma_f64 v[122:123], v[58:59], s[40:41], -v[138:139]
	v_fma_f64 v[138:139], v[58:59], s[40:41], v[138:139]
	v_add_f64 v[118:119], v[122:123], v[118:119]
	v_fma_f64 v[122:123], v[58:59], s[10:11], -v[144:145]
	v_add_f64 v[96:97], v[138:139], v[102:103]
	v_add_f64 v[120:121], v[122:123], v[120:121]
	v_fma_f64 v[122:123], v[16:17], s[34:35], -v[134:135]
	v_add_f64 v[118:119], v[122:123], v[118:119]
	v_fma_f64 v[122:123], v[16:17], s[20:21], -v[136:137]
	;; [unrolled: 2-line block ×6, first 2 shown]
	v_add_f64 v[120:121], v[122:123], v[120:121]
	v_mul_f64 v[122:123], v[4:5], s[30:31]
	v_fma_f64 v[124:125], v[0:1], s[24:25], -v[122:123]
	v_add_f64 v[118:119], v[124:125], v[118:119]
	v_mul_f64 v[124:125], v[4:5], s[38:39]
	v_fma_f64 v[140:141], v[0:1], s[34:35], -v[124:125]
	v_add_f64 v[120:121], v[140:141], v[120:121]
	v_fma_f64 v[140:141], v[106:107], s[6:7], -v[185:186]
	v_fma_f64 v[185:186], v[106:107], s[6:7], v[185:186]
	v_add_f64 v[140:141], v[20:21], v[140:141]
	v_add_f64 v[140:141], v[142:143], v[140:141]
	v_fma_f64 v[142:143], v[106:107], s[10:11], -v[189:190]
	v_fma_f64 v[189:190], v[106:107], s[10:11], v[189:190]
	v_add_f64 v[142:143], v[20:21], v[142:143]
	v_add_f64 v[142:143], v[146:147], v[142:143]
	v_fma_f64 v[146:147], v[70:71], s[10:11], -v[193:194]
	v_add_f64 v[140:141], v[146:147], v[140:141]
	v_fma_f64 v[146:147], v[70:71], s[20:21], -v[195:196]
	v_add_f64 v[142:143], v[146:147], v[142:143]
	v_fma_f64 v[146:147], v[58:59], s[24:25], -v[197:198]
	v_add_f64 v[140:141], v[146:147], v[140:141]
	v_fma_f64 v[146:147], v[58:59], s[4:5], -v[199:200]
	v_add_f64 v[142:143], v[146:147], v[142:143]
	v_fma_f64 v[146:147], v[16:17], s[4:5], -v[201:202]
	v_add_f64 v[140:141], v[146:147], v[140:141]
	v_fma_f64 v[146:147], v[16:17], s[40:41], -v[203:204]
	v_add_f64 v[142:143], v[146:147], v[142:143]
	v_fma_f64 v[146:147], v[10:11], s[34:35], -v[205:206]
	v_add_f64 v[140:141], v[146:147], v[140:141]
	v_fma_f64 v[146:147], v[10:11], s[6:7], -v[207:208]
	v_add_f64 v[142:143], v[146:147], v[142:143]
	v_fma_f64 v[146:147], v[6:7], s[16:17], -v[158:159]
	v_add_f64 v[140:141], v[146:147], v[140:141]
	v_fma_f64 v[146:147], v[6:7], s[24:25], -v[160:161]
	v_add_f64 v[142:143], v[146:147], v[142:143]
	v_mul_f64 v[146:147], v[4:5], s[26:27]
	v_fma_f64 v[148:149], v[0:1], s[20:21], -v[146:147]
	v_add_f64 v[140:141], v[148:149], v[140:141]
	v_mul_f64 v[148:149], v[4:5], s[28:29]
	v_fma_f64 v[209:210], v[0:1], s[16:17], -v[148:149]
	;; [unrolled: 3-line block ×3, first 2 shown]
	v_add_f64 v[211:212], v[20:21], v[211:212]
	v_add_f64 v[211:212], v[215:216], v[211:212]
	v_mul_f64 v[215:216], v[110:111], s[38:39]
	v_mul_f64 v[110:111], v[110:111], s[46:47]
	v_fma_f64 v[217:218], v[106:107], s[34:35], -v[215:216]
	v_add_f64 v[217:218], v[20:21], v[217:218]
	v_add_f64 v[217:218], v[221:222], v[217:218]
	v_mul_f64 v[221:222], v[116:117], s[36:37]
	v_fma_f64 v[223:224], v[70:71], s[24:25], -v[221:222]
	v_add_f64 v[211:212], v[223:224], v[211:212]
	v_mul_f64 v[223:224], v[116:117], s[42:43]
	v_fma_f64 v[225:226], v[70:71], s[6:7], -v[223:224]
	v_fma_f64 v[152:153], v[70:71], s[6:7], v[223:224]
	v_add_f64 v[217:218], v[225:226], v[217:218]
	v_mul_f64 v[225:226], v[114:115], s[38:39]
	v_fma_f64 v[227:228], v[58:59], s[34:35], -v[225:226]
	v_add_f64 v[211:212], v[227:228], v[211:212]
	v_mul_f64 v[227:228], v[114:115], s[44:45]
	v_fma_f64 v[229:230], v[58:59], s[16:17], -v[227:228]
	v_fma_f64 v[108:109], v[58:59], s[16:17], v[227:228]
	v_add_f64 v[217:218], v[229:230], v[217:218]
	v_mul_f64 v[229:230], v[104:105], s[14:15]
	v_fma_f64 v[231:232], v[16:17], s[6:7], -v[229:230]
	v_add_f64 v[211:212], v[231:232], v[211:212]
	v_mul_f64 v[231:232], v[104:105], s[36:37]
	v_mul_f64 v[104:105], v[104:105], s[28:29]
	v_fma_f64 v[233:234], v[16:17], s[24:25], -v[231:232]
	v_fma_f64 v[102:103], v[16:17], s[24:25], v[231:232]
	v_add_f64 v[217:218], v[233:234], v[217:218]
	v_mul_f64 v[233:234], v[94:95], s[48:49]
	v_fma_f64 v[235:236], v[10:11], s[20:21], -v[233:234]
	v_add_f64 v[211:212], v[235:236], v[211:212]
	v_mul_f64 v[235:236], v[94:95], s[46:47]
	v_mul_f64 v[94:95], v[94:95], s[18:19]
	v_fma_f64 v[237:238], v[10:11], s[40:41], -v[235:236]
	v_add_f64 v[217:218], v[237:238], v[217:218]
	v_mul_f64 v[237:238], v[14:15], s[46:47]
	v_fma_f64 v[239:240], v[6:7], s[40:41], -v[237:238]
	v_add_f64 v[211:212], v[239:240], v[211:212]
	v_mul_f64 v[239:240], v[14:15], s[26:27]
	v_mul_f64 v[14:15], v[14:15], s[22:23]
	v_fma_f64 v[241:242], v[6:7], s[20:21], -v[239:240]
	v_add_f64 v[217:218], v[241:242], v[217:218]
	v_mul_f64 v[241:242], v[4:5], s[18:19]
	v_fma_f64 v[243:244], v[0:1], s[4:5], -v[241:242]
	v_add_f64 v[211:212], v[243:244], v[211:212]
	v_mul_f64 v[243:244], v[4:5], s[22:23]
	v_mul_f64 v[4:5], v[4:5], s[14:15]
	v_fma_f64 v[245:246], v[0:1], s[10:11], -v[243:244]
	v_add_f64 v[217:218], v[245:246], v[217:218]
	v_fma_f64 v[245:246], v[106:107], s[40:41], -v[110:111]
	v_fma_f64 v[110:111], v[106:107], s[40:41], v[110:111]
	v_add_f64 v[245:246], v[20:21], v[245:246]
	v_add_f64 v[110:111], v[20:21], v[110:111]
	;; [unrolled: 1-line block ×4, first 2 shown]
	v_mul_f64 v[112:113], v[116:117], s[38:39]
	v_fma_f64 v[116:117], v[70:71], s[34:35], -v[112:113]
	v_fma_f64 v[112:113], v[70:71], s[34:35], v[112:113]
	v_add_f64 v[116:117], v[116:117], v[245:246]
	v_add_f64 v[110:111], v[112:113], v[110:111]
	v_mul_f64 v[112:113], v[114:115], s[26:27]
	v_fma_f64 v[114:115], v[58:59], s[20:21], -v[112:113]
	v_fma_f64 v[112:113], v[58:59], s[20:21], v[112:113]
	v_add_f64 v[114:115], v[114:115], v[116:117]
	v_add_f64 v[110:111], v[112:113], v[110:111]
	v_fma_f64 v[112:113], v[106:107], s[16:17], v[209:210]
	v_fma_f64 v[116:117], v[106:107], s[34:35], v[215:216]
	;; [unrolled: 1-line block ×3, first 2 shown]
	v_fma_f64 v[183:184], v[16:17], s[16:17], -v[104:105]
	v_fma_f64 v[104:105], v[16:17], s[16:17], v[104:105]
	v_add_f64 v[112:113], v[20:21], v[112:113]
	v_add_f64 v[116:117], v[20:21], v[116:117]
	;; [unrolled: 1-line block ×6, first 2 shown]
	v_fma_f64 v[106:107], v[100:101], s[10:11], v[213:214]
	v_fma_f64 v[189:190], v[100:101], s[4:5], v[219:220]
	;; [unrolled: 1-line block ×3, first 2 shown]
	v_add_f64 v[104:105], v[104:105], v[110:111]
	v_fma_f64 v[156:157], v[70:71], s[10:11], v[193:194]
	v_add_f64 v[106:107], v[106:107], v[112:113]
	v_add_f64 v[110:111], v[189:190], v[116:117]
	;; [unrolled: 1-line block ×5, first 2 shown]
	v_fma_f64 v[100:101], v[70:71], s[24:25], v[221:222]
	v_fma_f64 v[70:71], v[70:71], s[40:41], v[154:155]
	v_fma_f64 v[154:155], v[10:11], s[4:5], -v[94:95]
	v_fma_f64 v[94:95], v[10:11], s[4:5], v[94:95]
	v_add_f64 v[100:101], v[100:101], v[106:107]
	v_add_f64 v[106:107], v[152:153], v[110:111]
	;; [unrolled: 1-line block ×5, first 2 shown]
	v_fma_f64 v[70:71], v[58:59], s[34:35], v[225:226]
	v_fma_f64 v[116:117], v[58:59], s[24:25], v[197:198]
	;; [unrolled: 1-line block ×3, first 2 shown]
	v_add_f64 v[94:95], v[94:95], v[104:105]
	v_add_f64 v[114:115], v[154:155], v[114:115]
	;; [unrolled: 1-line block ×7, first 2 shown]
	v_fma_f64 v[58:59], v[16:17], s[6:7], v[229:230]
	v_fma_f64 v[108:109], v[16:17], s[4:5], v[201:202]
	;; [unrolled: 1-line block ×5, first 2 shown]
	v_fma_f64 v[116:117], v[6:7], s[10:11], -v[14:15]
	v_fma_f64 v[14:15], v[6:7], s[10:11], v[14:15]
	v_add_f64 v[58:59], v[58:59], v[70:71]
	v_add_f64 v[70:71], v[102:103], v[100:101]
	;; [unrolled: 1-line block ×6, first 2 shown]
	v_fma_f64 v[20:21], v[10:11], s[20:21], v[233:234]
	v_fma_f64 v[96:97], v[10:11], s[40:41], v[235:236]
	;; [unrolled: 1-line block ×6, first 2 shown]
	v_add_f64 v[14:15], v[14:15], v[94:95]
	v_add_f64 v[114:115], v[116:117], v[114:115]
	;; [unrolled: 1-line block ×8, first 2 shown]
	v_fma_f64 v[16:17], v[6:7], s[40:41], v[237:238]
	v_fma_f64 v[66:67], v[6:7], s[20:21], v[239:240]
	;; [unrolled: 1-line block ×6, first 2 shown]
	v_fma_f64 v[104:105], v[0:1], s[6:7], -v[4:5]
	v_fma_f64 v[4:5], v[0:1], s[6:7], v[4:5]
	v_add_f64 v[16:17], v[16:17], v[20:21]
	v_add_f64 v[20:21], v[66:67], v[58:59]
	;; [unrolled: 1-line block ×6, first 2 shown]
	v_fma_f64 v[10:11], v[0:1], s[4:5], v[241:242]
	v_fma_f64 v[18:19], v[0:1], s[10:11], v[243:244]
	;; [unrolled: 1-line block ×7, first 2 shown]
	v_add_f64 v[104:105], v[104:105], v[114:115]
	v_add_f64 v[2:3], v[4:5], v[14:15]
	;; [unrolled: 1-line block ×9, first 2 shown]
	ds_write2_b64 v180, v[118:119], v[120:121] offset0:34 offset1:51
	ds_write2_b64 v180, v[140:141], v[142:143] offset0:68 offset1:85
	;; [unrolled: 1-line block ×7, first 2 shown]
	ds_write_b64 v180, v[66:67] offset:2176
	v_add_u32_e32 v16, 0x1400, v177
	s_waitcnt lgkmcnt(0)
	; wave barrier
	s_waitcnt lgkmcnt(0)
	ds_read_b64 v[94:95], v177
	ds_read_b64 v[96:97], v171
	;; [unrolled: 1-line block ×5, first 2 shown]
	ds_read2_b64 v[0:3], v178 offset0:109 offset1:194
	ds_read2_b64 v[8:11], v179 offset0:117 offset1:168
	;; [unrolled: 1-line block ×5, first 2 shown]
	v_sub_u32_e32 v20, 0, v175
	v_add_u32_e32 v106, v169, v20
                                        ; implicit-def: $vgpr70_vgpr71
	s_and_saveexec_b64 s[58:59], s[0:1]
	s_cbranch_execz .LBB0_15
; %bb.14:
	ds_read_b64 v[58:59], v170
	ds_read_b64 v[66:67], v106 offset:4352
	ds_read_b64 v[70:71], v106 offset:6664
.LBB0_15:
	s_or_b64 exec, exec, s[58:59]
	v_add_f64 v[20:21], v[98:99], v[84:85]
	v_add_f64 v[88:89], v[88:89], -v[90:91]
	v_add_f64 v[84:85], v[84:85], v[54:55]
	v_add_f64 v[90:91], v[78:79], v[60:61]
	v_add_f64 v[82:83], v[86:87], -v[82:83]
	v_add_f64 v[76:77], v[92:93], -v[76:77]
	v_add_f64 v[86:87], v[80:81], v[56:57]
	v_add_f64 v[50:51], v[74:75], -v[50:51]
	v_add_f64 v[20:21], v[20:21], v[78:79]
	v_mul_f64 v[78:79], v[88:89], s[36:37]
	v_mul_f64 v[92:93], v[88:89], s[48:49]
	;; [unrolled: 1-line block ×7, first 2 shown]
	v_add_f64 v[20:21], v[20:21], v[80:81]
	v_mul_f64 v[88:89], v[88:89], s[46:47]
	v_mul_f64 v[80:81], v[82:83], s[48:49]
	;; [unrolled: 1-line block ×5, first 2 shown]
	v_fma_f64 v[139:140], v[84:85], s[24:25], v[78:79]
	v_fma_f64 v[141:142], v[84:85], s[20:21], v[92:93]
	v_add_f64 v[20:21], v[20:21], v[72:73]
	v_fma_f64 v[92:93], v[84:85], s[20:21], -v[92:93]
	v_fma_f64 v[143:144], v[84:85], s[4:5], v[107:108]
	v_fma_f64 v[107:108], v[84:85], s[4:5], -v[107:108]
	v_fma_f64 v[145:146], v[84:85], s[6:7], v[109:110]
	v_mul_f64 v[123:124], v[82:83], s[54:55]
	v_mul_f64 v[125:126], v[82:83], s[50:51]
	;; [unrolled: 1-line block ×3, first 2 shown]
	v_add_f64 v[20:21], v[20:21], v[62:63]
	v_mul_f64 v[82:83], v[82:83], s[30:31]
	v_mul_f64 v[129:130], v[76:77], s[52:53]
	;; [unrolled: 1-line block ×5, first 2 shown]
	v_fma_f64 v[78:79], v[84:85], s[24:25], -v[78:79]
	v_fma_f64 v[109:110], v[84:85], s[6:7], -v[109:110]
	v_add_f64 v[20:21], v[20:21], v[40:41]
	v_fma_f64 v[147:148], v[84:85], s[10:11], v[111:112]
	v_fma_f64 v[111:112], v[84:85], s[10:11], -v[111:112]
	v_fma_f64 v[149:150], v[84:85], s[16:17], v[113:114]
	v_fma_f64 v[113:114], v[84:85], s[16:17], -v[113:114]
	;; [unrolled: 2-line block ×3, first 2 shown]
	v_fma_f64 v[153:154], v[84:85], s[40:41], v[88:89]
	v_add_f64 v[20:21], v[20:21], v[30:31]
	v_fma_f64 v[84:85], v[84:85], s[40:41], -v[88:89]
	v_fma_f64 v[88:89], v[90:91], s[20:21], v[80:81]
	v_fma_f64 v[155:156], v[90:91], s[6:7], v[117:118]
	v_fma_f64 v[117:118], v[90:91], s[6:7], -v[117:118]
	v_fma_f64 v[157:158], v[90:91], s[16:17], v[119:120]
	v_fma_f64 v[119:120], v[90:91], s[16:17], -v[119:120]
	v_fma_f64 v[159:160], v[90:91], s[40:41], v[121:122]
	v_add_f64 v[20:21], v[20:21], v[22:23]
	v_add_f64 v[139:140], v[98:99], v[139:140]
	;; [unrolled: 1-line block ×6, first 2 shown]
	v_mul_f64 v[137:138], v[76:77], s[26:27]
	v_fma_f64 v[80:81], v[90:91], s[20:21], -v[80:81]
	v_add_f64 v[20:21], v[20:21], v[26:27]
	v_fma_f64 v[121:122], v[90:91], s[40:41], -v[121:122]
	v_fma_f64 v[175:176], v[90:91], s[34:35], v[123:124]
	v_fma_f64 v[123:124], v[90:91], s[34:35], -v[123:124]
	v_fma_f64 v[177:178], v[90:91], s[10:11], v[125:126]
	;; [unrolled: 2-line block ×3, first 2 shown]
	v_fma_f64 v[127:128], v[90:91], s[4:5], -v[127:128]
	v_add_f64 v[20:21], v[20:21], v[36:37]
	v_fma_f64 v[183:184], v[90:91], s[24:25], v[82:83]
	v_fma_f64 v[82:83], v[90:91], s[24:25], -v[82:83]
	v_fma_f64 v[90:91], v[86:87], s[4:5], v[129:130]
	v_fma_f64 v[185:186], v[86:87], s[16:17], v[131:132]
	v_fma_f64 v[131:132], v[86:87], s[16:17], -v[131:132]
	v_fma_f64 v[187:188], v[86:87], s[40:41], v[133:134]
	v_fma_f64 v[133:134], v[86:87], s[40:41], -v[133:134]
	v_add_f64 v[20:21], v[20:21], v[44:45]
	v_fma_f64 v[189:190], v[86:87], s[10:11], v[135:136]
	v_add_f64 v[78:79], v[98:99], v[78:79]
	v_add_f64 v[141:142], v[98:99], v[141:142]
	v_add_f64 v[109:110], v[98:99], v[109:110]
	v_add_f64 v[147:148], v[98:99], v[147:148]
	v_add_f64 v[111:112], v[98:99], v[111:112]
	v_add_f64 v[149:150], v[98:99], v[149:150]
	v_add_f64 v[20:21], v[20:21], v[46:47]
	v_add_f64 v[113:114], v[98:99], v[113:114]
	v_add_f64 v[151:152], v[98:99], v[151:152]
	v_add_f64 v[115:116], v[98:99], v[115:116]
	v_add_f64 v[153:154], v[98:99], v[153:154]
	v_add_f64 v[84:85], v[98:99], v[84:85]
	v_add_f64 v[88:89], v[88:89], v[139:140]
	v_add_f64 v[92:93], v[117:118], v[92:93]
	v_add_f64 v[20:21], v[20:21], v[52:53]
	v_add_f64 v[98:99], v[157:158], v[143:144]
	v_add_f64 v[107:108], v[119:120], v[107:108]
	v_add_f64 v[117:118], v[159:160], v[145:146]
	v_add_f64 v[111:112], v[123:124], v[111:112]
	v_add_f64 v[82:83], v[82:83], v[84:85]
	v_add_f64 v[84:85], v[90:91], v[88:89]
	v_add_f64 v[88:89], v[131:132], v[92:93]
	v_add_f64 v[20:21], v[20:21], v[56:57]
	v_add_f64 v[90:91], v[187:188], v[98:99]
	v_mul_f64 v[92:93], v[76:77], s[36:37]
	v_fma_f64 v[98:99], v[86:87], s[20:21], -v[137:138]
	v_add_f64 v[113:114], v[125:126], v[113:114]
	v_add_f64 v[115:116], v[127:128], v[115:116]
	v_mul_f64 v[74:75], v[76:77], s[38:39]
	v_fma_f64 v[129:130], v[86:87], s[4:5], -v[129:130]
	v_add_f64 v[20:21], v[20:21], v[60:61]
	v_fma_f64 v[135:136], v[86:87], s[10:11], -v[135:136]
	v_fma_f64 v[191:192], v[86:87], s[20:21], v[137:138]
	v_add_f64 v[98:99], v[98:99], v[111:112]
	v_add_f64 v[78:79], v[80:81], v[78:79]
	;; [unrolled: 1-line block ×8, first 2 shown]
	v_mul_f64 v[117:118], v[76:77], s[42:43]
	v_fma_f64 v[76:77], v[86:87], s[24:25], v[92:93]
	v_fma_f64 v[92:93], v[86:87], s[24:25], -v[92:93]
	v_add_f64 v[121:122], v[181:182], v[151:152]
	v_add_f64 v[52:53], v[72:73], v[52:53]
	v_mul_f64 v[72:73], v[50:51], s[42:43]
	v_fma_f64 v[123:124], v[86:87], s[34:35], v[74:75]
	v_fma_f64 v[74:75], v[86:87], s[34:35], -v[74:75]
	v_fma_f64 v[111:112], v[86:87], s[6:7], v[117:118]
	v_fma_f64 v[117:118], v[86:87], s[6:7], -v[117:118]
	v_add_f64 v[86:87], v[92:93], v[113:114]
	v_mul_f64 v[92:93], v[50:51], s[46:47]
	v_add_f64 v[78:79], v[129:130], v[78:79]
	v_add_f64 v[80:81], v[185:186], v[80:81]
	;; [unrolled: 1-line block ×6, first 2 shown]
	v_mul_f64 v[117:118], v[50:51], s[50:51]
	v_fma_f64 v[115:116], v[52:53], s[6:7], v[72:73]
	v_fma_f64 v[72:73], v[52:53], s[6:7], -v[72:73]
	v_fma_f64 v[82:83], v[52:53], s[40:41], v[92:93]
	v_mul_f64 v[119:120], v[50:51], s[30:31]
	v_add_f64 v[109:110], v[175:176], v[147:148]
	v_fma_f64 v[92:93], v[52:53], s[40:41], -v[92:93]
	v_add_f64 v[56:57], v[135:136], v[56:57]
	v_fma_f64 v[121:122], v[52:53], s[10:11], v[117:118]
	v_fma_f64 v[117:118], v[52:53], s[10:11], -v[117:118]
	v_add_f64 v[84:85], v[115:116], v[84:85]
	v_mul_f64 v[115:116], v[50:51], s[52:53]
	v_add_f64 v[72:73], v[72:73], v[78:79]
	v_add_f64 v[78:79], v[82:83], v[80:81]
	v_fma_f64 v[80:81], v[52:53], s[24:25], v[119:120]
	v_add_f64 v[109:110], v[191:192], v[109:110]
	v_add_f64 v[82:83], v[92:93], v[88:89]
	;; [unrolled: 1-line block ×3, first 2 shown]
	v_mul_f64 v[117:118], v[50:51], s[38:39]
	v_fma_f64 v[88:89], v[52:53], s[24:25], -v[119:120]
	v_fma_f64 v[92:93], v[52:53], s[4:5], v[115:116]
	v_fma_f64 v[115:116], v[52:53], s[4:5], -v[115:116]
	v_add_f64 v[80:81], v[80:81], v[107:108]
	v_mul_f64 v[107:108], v[50:51], s[44:45]
	v_add_f64 v[48:49], v[64:65], -v[48:49]
	v_mul_f64 v[50:51], v[50:51], s[26:27]
	v_fma_f64 v[64:65], v[52:53], s[34:35], v[117:118]
	v_add_f64 v[56:57], v[88:89], v[56:57]
	v_add_f64 v[88:89], v[92:93], v[109:110]
	;; [unrolled: 1-line block ×3, first 2 shown]
	v_fma_f64 v[98:99], v[52:53], s[34:35], -v[117:118]
	v_fma_f64 v[109:110], v[52:53], s[16:17], v[107:108]
	v_fma_f64 v[107:108], v[52:53], s[16:17], -v[107:108]
	v_add_f64 v[46:47], v[62:63], v[46:47]
	v_mul_f64 v[62:63], v[48:49], s[22:23]
	v_fma_f64 v[115:116], v[52:53], s[20:21], v[50:51]
	v_add_f64 v[64:65], v[64:65], v[76:77]
	v_fma_f64 v[50:51], v[52:53], s[20:21], -v[50:51]
	v_mul_f64 v[76:77], v[48:49], s[54:55]
	v_add_f64 v[52:53], v[98:99], v[86:87]
	v_add_f64 v[86:87], v[109:110], v[111:112]
	;; [unrolled: 1-line block ×3, first 2 shown]
	v_fma_f64 v[107:108], v[46:47], s[10:11], v[62:63]
	v_mul_f64 v[109:110], v[48:49], s[26:27]
	v_fma_f64 v[62:63], v[46:47], s[10:11], -v[62:63]
	v_add_f64 v[50:51], v[50:51], v[74:75]
	v_fma_f64 v[74:75], v[46:47], s[34:35], v[76:77]
	v_mul_f64 v[111:112], v[48:49], s[52:53]
	v_fma_f64 v[76:77], v[46:47], s[34:35], -v[76:77]
	v_add_f64 v[34:35], v[34:35], -v[42:43]
	v_add_f64 v[84:85], v[107:108], v[84:85]
	v_mul_f64 v[107:108], v[48:49], s[46:47]
	v_fma_f64 v[113:114], v[46:47], s[20:21], v[109:110]
	v_fma_f64 v[109:110], v[46:47], s[20:21], -v[109:110]
	v_add_f64 v[62:63], v[62:63], v[72:73]
	v_add_f64 v[72:73], v[74:75], v[78:79]
	v_fma_f64 v[74:75], v[46:47], s[4:5], v[111:112]
	v_add_f64 v[76:77], v[76:77], v[82:83]
	v_fma_f64 v[78:79], v[46:47], s[4:5], -v[111:112]
	v_fma_f64 v[82:83], v[46:47], s[40:41], v[107:108]
	v_fma_f64 v[107:108], v[46:47], s[40:41], -v[107:108]
	v_add_f64 v[54:55], v[109:110], v[54:55]
	v_mul_f64 v[109:110], v[48:49], s[14:15]
	v_mul_f64 v[42:43], v[48:49], s[28:29]
	v_add_f64 v[74:75], v[74:75], v[80:81]
	v_mul_f64 v[80:81], v[48:49], s[36:37]
	v_add_f64 v[56:57], v[78:79], v[56:57]
	v_add_f64 v[78:79], v[82:83], v[88:89]
	;; [unrolled: 1-line block ×4, first 2 shown]
	v_fma_f64 v[48:49], v[46:47], s[6:7], v[109:110]
	v_fma_f64 v[88:89], v[46:47], s[6:7], -v[109:110]
	v_mul_f64 v[44:45], v[34:35], s[28:29]
	v_fma_f64 v[92:93], v[46:47], s[24:25], v[80:81]
	v_fma_f64 v[107:108], v[46:47], s[16:17], v[42:43]
	v_fma_f64 v[42:43], v[46:47], s[16:17], -v[42:43]
	v_fma_f64 v[80:81], v[46:47], s[24:25], -v[80:81]
	v_add_f64 v[32:33], v[32:33], -v[38:39]
	v_add_f64 v[48:49], v[48:49], v[64:65]
	v_add_f64 v[46:47], v[88:89], v[52:53]
	v_mul_f64 v[64:65], v[34:35], s[50:51]
	v_add_f64 v[52:53], v[92:93], v[86:87]
	v_fma_f64 v[86:87], v[40:41], s[16:17], v[44:45]
	v_mul_f64 v[88:89], v[34:35], s[36:37]
	v_add_f64 v[42:43], v[42:43], v[50:51]
	v_fma_f64 v[44:45], v[40:41], s[16:17], -v[44:45]
	v_mul_f64 v[50:51], v[34:35], s[38:39]
	v_add_f64 v[80:81], v[80:81], v[98:99]
	v_fma_f64 v[92:93], v[40:41], s[10:11], v[64:65]
	v_fma_f64 v[64:65], v[40:41], s[10:11], -v[64:65]
	v_add_f64 v[84:85], v[86:87], v[84:85]
	v_mul_f64 v[86:87], v[34:35], s[14:15]
	v_fma_f64 v[98:99], v[40:41], s[24:25], v[88:89]
	v_fma_f64 v[88:89], v[40:41], s[24:25], -v[88:89]
	v_add_f64 v[44:45], v[44:45], v[62:63]
	v_fma_f64 v[62:63], v[40:41], s[34:35], v[50:51]
	v_fma_f64 v[50:51], v[40:41], s[34:35], -v[50:51]
	v_add_f64 v[64:65], v[64:65], v[76:77]
	v_add_f64 v[90:91], v[121:122], v[90:91]
	v_fma_f64 v[76:77], v[40:41], s[6:7], v[86:87]
	v_add_f64 v[30:31], v[30:31], v[36:37]
	v_add_f64 v[54:55], v[88:89], v[54:55]
	v_mul_f64 v[88:89], v[34:35], s[48:49]
	v_add_f64 v[62:63], v[62:63], v[74:75]
	v_fma_f64 v[74:75], v[40:41], s[6:7], -v[86:87]
	v_mul_f64 v[86:87], v[34:35], s[46:47]
	v_mul_f64 v[34:35], v[34:35], s[18:19]
	v_add_f64 v[50:51], v[50:51], v[56:57]
	v_add_f64 v[56:57], v[76:77], v[78:79]
	v_mul_f64 v[36:37], v[32:33], s[38:39]
	v_fma_f64 v[38:39], v[40:41], s[20:21], v[88:89]
	v_fma_f64 v[76:77], v[40:41], s[20:21], -v[88:89]
	v_add_f64 v[74:75], v[74:75], v[82:83]
	v_fma_f64 v[78:79], v[40:41], s[40:41], v[86:87]
	v_fma_f64 v[82:83], v[40:41], s[40:41], -v[86:87]
	v_fma_f64 v[86:87], v[40:41], s[4:5], v[34:35]
	v_fma_f64 v[34:35], v[40:41], s[4:5], -v[34:35]
	v_add_f64 v[90:91], v[113:114], v[90:91]
	v_add_f64 v[38:39], v[38:39], v[48:49]
	;; [unrolled: 1-line block ×3, first 2 shown]
	v_mul_f64 v[48:49], v[32:33], s[18:19]
	v_add_f64 v[40:41], v[78:79], v[52:53]
	v_fma_f64 v[76:77], v[30:31], s[34:35], v[36:37]
	v_mul_f64 v[78:79], v[32:33], s[42:43]
	v_add_f64 v[60:61], v[183:184], v[153:154]
	v_fma_f64 v[36:37], v[30:31], s[34:35], -v[36:37]
	v_add_f64 v[34:35], v[34:35], v[42:43]
	v_mul_f64 v[42:43], v[32:33], s[44:45]
	v_add_f64 v[72:73], v[92:93], v[72:73]
	v_add_f64 v[90:91], v[98:99], v[90:91]
	;; [unrolled: 1-line block ×3, first 2 shown]
	v_fma_f64 v[80:81], v[30:31], s[4:5], v[48:49]
	v_add_f64 v[76:77], v[76:77], v[84:85]
	v_fma_f64 v[84:85], v[30:31], s[6:7], v[78:79]
	v_add_f64 v[60:61], v[123:124], v[60:61]
	v_fma_f64 v[48:49], v[30:31], s[4:5], -v[48:49]
	v_mul_f64 v[82:83], v[32:33], s[36:37]
	v_add_f64 v[36:37], v[36:37], v[44:45]
	v_fma_f64 v[44:45], v[30:31], s[6:7], -v[78:79]
	v_fma_f64 v[78:79], v[30:31], s[16:17], v[42:43]
	v_add_f64 v[72:73], v[80:81], v[72:73]
	v_fma_f64 v[42:43], v[30:31], s[16:17], -v[42:43]
	v_add_f64 v[80:81], v[84:85], v[90:91]
	v_mul_f64 v[84:85], v[32:33], s[46:47]
	v_add_f64 v[60:61], v[115:116], v[60:61]
	v_add_f64 v[48:49], v[48:49], v[64:65]
	v_fma_f64 v[64:65], v[30:31], s[24:25], v[82:83]
	v_add_f64 v[44:45], v[44:45], v[54:55]
	v_add_f64 v[54:55], v[78:79], v[62:63]
	v_mul_f64 v[78:79], v[32:33], s[26:27]
	v_add_f64 v[24:25], v[24:25], -v[28:29]
	v_fma_f64 v[62:63], v[30:31], s[24:25], -v[82:83]
	v_add_f64 v[50:51], v[42:43], v[50:51]
	v_fma_f64 v[28:29], v[30:31], s[40:41], v[84:85]
	v_fma_f64 v[42:43], v[30:31], s[40:41], -v[84:85]
	v_add_f64 v[60:61], v[107:108], v[60:61]
	v_add_f64 v[56:57], v[64:65], v[56:57]
	v_mul_f64 v[32:33], v[32:33], s[22:23]
	v_fma_f64 v[64:65], v[30:31], s[20:21], v[78:79]
	v_add_f64 v[22:23], v[22:23], v[26:27]
	v_mul_f64 v[26:27], v[24:25], s[46:47]
	v_add_f64 v[62:63], v[62:63], v[74:75]
	v_fma_f64 v[74:75], v[30:31], s[20:21], -v[78:79]
	v_add_f64 v[28:29], v[28:29], v[38:39]
	v_add_f64 v[38:39], v[42:43], v[46:47]
	v_mul_f64 v[46:47], v[24:25], s[30:31]
	v_add_f64 v[60:61], v[86:87], v[60:61]
	v_fma_f64 v[42:43], v[30:31], s[10:11], v[32:33]
	v_add_f64 v[64:65], v[64:65], v[40:41]
	v_fma_f64 v[30:31], v[30:31], s[10:11], -v[32:33]
	v_fma_f64 v[32:33], v[22:23], s[40:41], v[26:27]
	v_mul_f64 v[40:41], v[24:25], s[38:39]
	v_fma_f64 v[26:27], v[22:23], s[40:41], -v[26:27]
	v_add_f64 v[52:53], v[74:75], v[52:53]
	v_fma_f64 v[74:75], v[22:23], s[24:25], v[46:47]
	v_fma_f64 v[46:47], v[22:23], s[24:25], -v[46:47]
	v_mul_f64 v[78:79], v[24:25], s[26:27]
	v_add_f64 v[60:61], v[42:43], v[60:61]
	v_add_f64 v[30:31], v[30:31], v[34:35]
	v_fma_f64 v[34:35], v[22:23], s[34:35], v[40:41]
	v_add_f64 v[42:43], v[26:27], v[36:37]
	v_fma_f64 v[26:27], v[22:23], s[34:35], -v[40:41]
	v_add_f64 v[36:37], v[74:75], v[72:73]
	v_add_f64 v[40:41], v[46:47], v[48:49]
	v_fma_f64 v[48:49], v[22:23], s[20:21], -v[78:79]
	v_mul_f64 v[72:73], v[24:25], s[28:29]
	v_fma_f64 v[46:47], v[22:23], s[20:21], v[78:79]
	v_mul_f64 v[74:75], v[24:25], s[18:19]
	v_add_f64 v[32:33], v[32:33], v[76:77]
	v_add_f64 v[26:27], v[26:27], v[44:45]
	v_mul_f64 v[44:45], v[24:25], s[22:23]
	v_mul_f64 v[24:25], v[24:25], s[14:15]
	v_add_f64 v[48:49], v[48:49], v[50:51]
	v_fma_f64 v[50:51], v[22:23], s[16:17], v[72:73]
	v_add_f64 v[46:47], v[46:47], v[54:55]
	v_fma_f64 v[54:55], v[22:23], s[16:17], -v[72:73]
	v_fma_f64 v[72:73], v[22:23], s[4:5], v[74:75]
	v_fma_f64 v[74:75], v[22:23], s[4:5], -v[74:75]
	v_fma_f64 v[76:77], v[22:23], s[10:11], v[44:45]
	v_fma_f64 v[78:79], v[22:23], s[6:7], v[24:25]
	v_fma_f64 v[24:25], v[22:23], s[6:7], -v[24:25]
	v_fma_f64 v[22:23], v[22:23], s[10:11], -v[44:45]
	v_add_f64 v[34:35], v[34:35], v[80:81]
	v_add_f64 v[44:45], v[50:51], v[56:57]
	;; [unrolled: 1-line block ×9, first 2 shown]
	s_waitcnt lgkmcnt(0)
	; wave barrier
	s_waitcnt lgkmcnt(0)
	ds_write2_b64 v180, v[20:21], v[32:33] offset1:17
	ds_write2_b64 v180, v[36:37], v[34:35] offset0:34 offset1:51
	ds_write2_b64 v180, v[46:47], v[44:45] offset0:68 offset1:85
	;; [unrolled: 1-line block ×7, first 2 shown]
	ds_write_b64 v180, v[42:43] offset:2176
	v_add_u32_e32 v32, 0x800, v106
	v_add_u32_e32 v24, 0xc00, v106
	;; [unrolled: 1-line block ×4, first 2 shown]
	s_waitcnt lgkmcnt(0)
	; wave barrier
	s_waitcnt lgkmcnt(0)
	ds_read_b64 v[48:49], v106
	ds_read2_b64 v[20:23], v32 offset0:33 offset1:84
	ds_read2_b64 v[24:27], v24 offset0:109 offset1:194
	;; [unrolled: 1-line block ×5, first 2 shown]
	ds_read_b64 v[50:51], v171
	ds_read_b64 v[52:53], v172
	;; [unrolled: 1-line block ×4, first 2 shown]
                                        ; implicit-def: $vgpr44_vgpr45
	s_and_saveexec_b64 s[4:5], s[0:1]
	s_cbranch_execz .LBB0_17
; %bb.16:
	ds_read_b64 v[40:41], v170
	ds_read_b64 v[42:43], v106 offset:4352
	ds_read_b64 v[44:45], v106 offset:6664
.LBB0_17:
	s_or_b64 exec, exec, s[4:5]
	s_and_saveexec_b64 s[4:5], vcc
	s_cbranch_execz .LBB0_20
; %bb.18:
	v_lshlrev_b32_e32 v46, 1, v167
	v_mov_b32_e32 v47, 0
	v_lshlrev_b64 v[60:61], 4, v[46:47]
	v_mov_b32_e32 v98, s9
	v_add_co_u32_e32 v46, vcc, s8, v60
	v_addc_co_u32_e32 v60, vcc, v98, v61, vcc
	v_add_co_u32_e32 v64, vcc, 0x1100, v46
	v_addc_co_u32_e32 v65, vcc, 0, v60, vcc
	;; [unrolled: 2-line block ×3, first 2 shown]
	global_load_dwordx4 v[60:63], v[76:77], off offset:256
	global_load_dwordx4 v[72:75], v[64:65], off offset:16
	v_lshlrev_b32_e32 v46, 1, v166
	v_lshlrev_b64 v[64:65], 4, v[46:47]
	s_movk_i32 s4, 0x1100
	v_add_co_u32_e32 v46, vcc, s8, v64
	v_addc_co_u32_e32 v76, vcc, v98, v65, vcc
	v_add_co_u32_e32 v64, vcc, s4, v46
	s_movk_i32 s10, 0x1000
	v_addc_co_u32_e32 v65, vcc, 0, v76, vcc
	v_add_co_u32_e32 v84, vcc, s10, v46
	v_addc_co_u32_e32 v85, vcc, 0, v76, vcc
	v_lshlrev_b32_e32 v46, 1, v165
	global_load_dwordx4 v[76:79], v[84:85], off offset:256
	global_load_dwordx4 v[80:83], v[64:65], off offset:16
	v_lshlrev_b64 v[64:65], 4, v[46:47]
	s_mov_b32 s7, 0xbfebb67a
	v_add_co_u32_e32 v46, vcc, s8, v64
	v_addc_co_u32_e32 v84, vcc, v98, v65, vcc
	v_add_co_u32_e32 v64, vcc, s4, v46
	v_addc_co_u32_e32 v65, vcc, 0, v84, vcc
	;; [unrolled: 2-line block ×3, first 2 shown]
	global_load_dwordx4 v[84:87], v[92:93], off offset:256
	global_load_dwordx4 v[88:91], v[64:65], off offset:16
	v_lshlrev_b32_e32 v46, 1, v168
	v_lshlrev_b64 v[64:65], 4, v[46:47]
	s_movk_i32 s11, 0x242
	v_add_co_u32_e32 v46, vcc, s8, v64
	v_addc_co_u32_e32 v93, vcc, v98, v65, vcc
	v_add_co_u32_e32 v64, vcc, s4, v46
	v_addc_co_u32_e32 v65, vcc, 0, v93, vcc
	;; [unrolled: 2-line block ×3, first 2 shown]
	v_lshlrev_b32_e32 v46, 1, v162
	global_load_dwordx4 v[106:109], v[92:93], off offset:256
	global_load_dwordx4 v[110:113], v[64:65], off offset:16
	v_lshlrev_b64 v[64:65], 4, v[46:47]
	v_add_co_u32_e32 v46, vcc, s8, v64
	v_addc_co_u32_e32 v93, vcc, v98, v65, vcc
	v_add_co_u32_e32 v64, vcc, s4, v46
	v_addc_co_u32_e32 v65, vcc, 0, v93, vcc
	;; [unrolled: 2-line block ×3, first 2 shown]
	global_load_dwordx4 v[114:117], v[92:93], off offset:256
	global_load_dwordx4 v[118:121], v[64:65], off offset:16
	s_mov_b32 s4, 0xe8584caa
	s_mov_b32 s5, 0x3febb67a
	;; [unrolled: 1-line block ×3, first 2 shown]
	s_waitcnt vmcnt(9)
	v_mul_f64 v[64:65], v[0:1], v[62:63]
	s_waitcnt vmcnt(8)
	v_mul_f64 v[92:93], v[18:19], v[74:75]
	s_waitcnt lgkmcnt(7)
	v_mul_f64 v[62:63], v[24:25], v[62:63]
	s_waitcnt lgkmcnt(4)
	v_mul_f64 v[74:75], v[38:39], v[74:75]
	v_fma_f64 v[24:25], v[24:25], v[60:61], v[64:65]
	v_fma_f64 v[38:39], v[38:39], v[72:73], v[92:93]
	v_fma_f64 v[0:1], v[0:1], v[60:61], -v[62:63]
	v_fma_f64 v[18:19], v[18:19], v[72:73], -v[74:75]
	v_add_f64 v[72:73], v[24:25], v[38:39]
	s_waitcnt vmcnt(7)
	v_mul_f64 v[60:61], v[14:15], v[78:79]
	v_mul_f64 v[62:63], v[34:35], v[78:79]
	s_waitcnt vmcnt(6)
	v_mul_f64 v[64:65], v[36:37], v[82:83]
	v_mul_f64 v[74:75], v[16:17], v[82:83]
	v_add_f64 v[78:79], v[0:1], v[18:19]
	v_fma_f64 v[98:99], v[34:35], v[76:77], v[60:61]
	v_add_f64 v[34:35], v[0:1], -v[18:19]
	s_waitcnt lgkmcnt(0)
	v_add_f64 v[60:61], v[56:57], v[24:25]
	v_fma_f64 v[56:57], v[72:73], -0.5, v[56:57]
	v_add_f64 v[24:25], v[24:25], -v[38:39]
	v_fma_f64 v[72:73], v[78:79], -0.5, v[104:105]
	v_fma_f64 v[74:75], v[36:37], v[80:81], v[74:75]
	s_waitcnt vmcnt(5)
	v_mul_f64 v[82:83], v[12:13], v[86:87]
	s_waitcnt vmcnt(4)
	v_mul_f64 v[92:93], v[10:11], v[90:91]
	v_fma_f64 v[76:77], v[14:15], v[76:77], -v[62:63]
	v_fma_f64 v[64:65], v[16:17], v[80:81], -v[64:65]
	v_add_f64 v[0:1], v[104:105], v[0:1]
	v_add_f64 v[16:17], v[60:61], v[38:39]
	v_fma_f64 v[36:37], v[34:35], s[4:5], v[56:57]
	v_fma_f64 v[62:63], v[34:35], s[6:7], v[56:57]
	v_fma_f64 v[34:35], v[24:25], s[6:7], v[72:73]
	v_add_f64 v[14:15], v[98:99], v[74:75]
	v_mul_f64 v[38:39], v[32:33], v[86:87]
	v_mul_f64 v[56:57], v[30:31], v[90:91]
	v_fma_f64 v[78:79], v[32:33], v[84:85], v[82:83]
	v_fma_f64 v[80:81], v[30:31], v[88:89], v[92:93]
	;; [unrolled: 1-line block ×3, first 2 shown]
	v_add_f64 v[24:25], v[76:77], v[64:65]
	v_add_f64 v[30:31], v[76:77], -v[64:65]
	v_fma_f64 v[32:33], v[14:15], -0.5, v[54:55]
	v_add_f64 v[14:15], v[0:1], v[18:19]
	v_fma_f64 v[0:1], v[12:13], v[84:85], -v[38:39]
	v_fma_f64 v[18:19], v[10:11], v[88:89], -v[56:57]
	v_add_f64 v[10:11], v[78:79], v[80:81]
	v_add_f64 v[38:39], v[54:55], v[98:99]
	v_fma_f64 v[24:25], v[24:25], -0.5, v[102:103]
	v_add_f64 v[54:55], v[98:99], -v[74:75]
	v_add_f64 v[72:73], v[102:103], v[76:77]
	v_fma_f64 v[12:13], v[30:31], s[4:5], v[32:33]
	v_fma_f64 v[32:33], v[30:31], s[6:7], v[32:33]
	v_add_f64 v[76:77], v[0:1], -v[18:19]
	v_fma_f64 v[82:83], v[10:11], -0.5, v[52:53]
	v_add_f64 v[52:53], v[52:53], v[78:79]
	s_waitcnt vmcnt(3)
	v_mul_f64 v[84:85], v[22:23], v[108:109]
	v_fma_f64 v[10:11], v[54:55], s[6:7], v[24:25]
	v_fma_f64 v[30:31], v[54:55], s[4:5], v[24:25]
	v_add_f64 v[54:55], v[72:73], v[64:65]
	s_waitcnt vmcnt(2)
	v_mul_f64 v[72:73], v[8:9], v[112:113]
	v_mul_f64 v[64:65], v[6:7], v[108:109]
	;; [unrolled: 1-line block ×3, first 2 shown]
	v_add_f64 v[56:57], v[38:39], v[74:75]
	v_add_f64 v[38:39], v[0:1], v[18:19]
	;; [unrolled: 1-line block ×3, first 2 shown]
	s_waitcnt vmcnt(1)
	v_mul_f64 v[52:53], v[4:5], v[116:117]
	v_fma_f64 v[24:25], v[76:77], s[4:5], v[82:83]
	v_fma_f64 v[88:89], v[28:29], v[110:111], v[72:73]
	s_waitcnt vmcnt(0)
	v_mul_f64 v[72:73], v[2:3], v[120:121]
	v_fma_f64 v[64:65], v[22:23], v[106:107], v[64:65]
	v_fma_f64 v[28:29], v[76:77], s[6:7], v[82:83]
	v_fma_f64 v[6:7], v[6:7], v[106:107], -v[84:85]
	v_fma_f64 v[76:77], v[8:9], v[110:111], -v[86:87]
	v_fma_f64 v[38:39], v[38:39], -0.5, v[100:101]
	v_add_f64 v[78:79], v[78:79], -v[80:81]
	v_mul_f64 v[80:81], v[20:21], v[116:117]
	v_mul_f64 v[82:83], v[26:27], v[120:121]
	v_fma_f64 v[52:53], v[20:21], v[114:115], v[52:53]
	v_fma_f64 v[84:85], v[26:27], v[118:119], v[72:73]
	v_add_f64 v[0:1], v[100:101], v[0:1]
	v_add_f64 v[8:9], v[64:65], v[88:89]
	v_add_f64 v[20:21], v[6:7], v[76:77]
	v_fma_f64 v[22:23], v[78:79], s[6:7], v[38:39]
	v_fma_f64 v[26:27], v[78:79], s[4:5], v[38:39]
	v_fma_f64 v[78:79], v[4:5], v[114:115], -v[80:81]
	v_fma_f64 v[80:81], v[2:3], v[118:119], -v[82:83]
	v_add_f64 v[2:3], v[52:53], v[84:85]
	v_add_f64 v[72:73], v[0:1], v[18:19]
	;; [unrolled: 1-line block ×3, first 2 shown]
	v_fma_f64 v[8:9], v[8:9], -0.5, v[50:51]
	v_fma_f64 v[18:19], v[20:21], -0.5, v[96:97]
	v_add_f64 v[50:51], v[64:65], -v[88:89]
	v_add_f64 v[64:65], v[96:97], v[6:7]
	v_add_f64 v[38:39], v[6:7], -v[76:77]
	v_add_f64 v[90:91], v[78:79], v[80:81]
	v_add_f64 v[82:83], v[78:79], -v[80:81]
	v_fma_f64 v[86:87], v[2:3], -0.5, v[48:49]
	v_add_f64 v[20:21], v[0:1], v[88:89]
	v_add_f64 v[0:1], v[48:49], v[52:53]
	v_fma_f64 v[2:3], v[50:51], s[6:7], v[18:19]
	v_fma_f64 v[6:7], v[50:51], s[4:5], v[18:19]
	v_add_f64 v[18:19], v[64:65], v[76:77]
	v_mad_u64_u32 v[64:65], s[14:15], s2, v162, 0
	v_fma_f64 v[4:5], v[38:39], s[4:5], v[8:9]
	v_fma_f64 v[8:9], v[38:39], s[6:7], v[8:9]
	v_fma_f64 v[38:39], v[90:91], -0.5, v[94:95]
	v_add_f64 v[52:53], v[52:53], -v[84:85]
	v_fma_f64 v[50:51], v[82:83], s[4:5], v[86:87]
	v_add_f64 v[88:89], v[94:95], v[78:79]
	v_fma_f64 v[78:79], v[82:83], s[6:7], v[86:87]
	v_add_f64 v[82:83], v[0:1], v[84:85]
	v_mov_b32_e32 v0, v65
	v_mad_u64_u32 v[0:1], s[14:15], s3, v162, v[0:1]
	v_fma_f64 v[48:49], v[52:53], s[6:7], v[38:39]
	v_fma_f64 v[76:77], v[52:53], s[4:5], v[38:39]
	v_mov_b32_e32 v65, v0
	v_lshlrev_b64 v[38:39], 4, v[64:65]
	v_add_u32_e32 v64, 0x121, v162
	v_mov_b32_e32 v1, s13
	v_add_co_u32_e32 v0, vcc, s12, v68
	v_mad_u64_u32 v[52:53], s[12:13], s2, v64, 0
	v_add_f64 v[80:81], v[88:89], v[80:81]
	v_addc_co_u32_e32 v1, vcc, v1, v69, vcc
	v_mov_b32_e32 v46, v53
	v_mad_u64_u32 v[64:65], s[12:13], s3, v64, v[46:47]
	v_add_u32_e32 v65, 0x242, v162
	v_mad_u64_u32 v[68:69], s[12:13], s2, v65, 0
	v_add_co_u32_e32 v38, vcc, v0, v38
	v_addc_co_u32_e32 v39, vcc, v1, v39, vcc
	v_mov_b32_e32 v53, v64
	v_mov_b32_e32 v46, v69
	global_store_dwordx4 v[38:39], v[80:83], off
	v_lshlrev_b64 v[38:39], 4, v[52:53]
	v_mad_u64_u32 v[52:53], s[12:13], s3, v65, v[46:47]
	v_add_co_u32_e32 v38, vcc, v0, v38
	v_mov_b32_e32 v69, v52
	v_mad_u64_u32 v[52:53], s[12:13], s2, v164, 0
	v_addc_co_u32_e32 v39, vcc, v1, v39, vcc
	v_mov_b32_e32 v46, v53
	v_mad_u64_u32 v[64:65], s[12:13], s3, v164, v[46:47]
	global_store_dwordx4 v[38:39], v[76:79], off
	v_lshlrev_b64 v[38:39], 4, v[68:69]
	v_add_u32_e32 v65, 0x154, v162
	v_add_co_u32_e32 v38, vcc, v0, v38
	v_addc_co_u32_e32 v39, vcc, v1, v39, vcc
	v_mov_b32_e32 v53, v64
	v_mad_u64_u32 v[68:69], s[12:13], s2, v65, 0
	global_store_dwordx4 v[38:39], v[48:51], off
	v_lshlrev_b64 v[38:39], 4, v[52:53]
	v_mov_b32_e32 v46, v69
	v_add_co_u32_e32 v38, vcc, v0, v38
	v_addc_co_u32_e32 v39, vcc, v1, v39, vcc
	global_store_dwordx4 v[38:39], v[18:21], off
	v_add_u32_e32 v38, 0x275, v162
	v_mad_u64_u32 v[48:49], s[12:13], s3, v65, v[46:47]
	v_mad_u64_u32 v[20:21], s[12:13], s2, v38, 0
	v_mov_b32_e32 v69, v48
	v_lshlrev_b64 v[18:19], 4, v[68:69]
	v_mad_u64_u32 v[38:39], s[12:13], s3, v38, v[21:22]
	v_add_co_u32_e32 v18, vcc, v0, v18
	v_addc_co_u32_e32 v19, vcc, v1, v19, vcc
	v_add_u32_e32 v39, 0x66, v162
	v_mov_b32_e32 v21, v38
	v_mad_u64_u32 v[48:49], s[12:13], s2, v39, 0
	global_store_dwordx4 v[18:19], v[6:9], off
	s_nop 0
	v_lshlrev_b64 v[6:7], 4, v[20:21]
	v_mov_b32_e32 v8, v49
	v_add_co_u32_e32 v6, vcc, v0, v6
	v_addc_co_u32_e32 v7, vcc, v1, v7, vcc
	global_store_dwordx4 v[6:7], v[2:5], off
	v_add_u32_e32 v6, 0x187, v162
	v_mad_u64_u32 v[8:9], s[12:13], s3, v39, v[8:9]
	v_mad_u64_u32 v[4:5], s[12:13], s2, v6, 0
	v_mov_b32_e32 v49, v8
	v_add_u32_e32 v8, 0x2a8, v162
	v_mad_u64_u32 v[5:6], s[12:13], s3, v6, v[5:6]
	v_lshlrev_b64 v[2:3], 4, v[48:49]
	v_mad_u64_u32 v[6:7], s[12:13], s2, v8, 0
	v_add_co_u32_e32 v2, vcc, v0, v2
	v_addc_co_u32_e32 v3, vcc, v1, v3, vcc
	global_store_dwordx4 v[2:3], v[72:75], off
	v_lshlrev_b64 v[2:3], 4, v[4:5]
	v_mov_b32_e32 v4, v7
	v_mad_u64_u32 v[4:5], s[12:13], s3, v8, v[4:5]
	v_add_co_u32_e32 v2, vcc, v0, v2
	v_addc_co_u32_e32 v3, vcc, v1, v3, vcc
	v_mov_b32_e32 v7, v4
	global_store_dwordx4 v[2:3], v[26:29], off
	v_lshlrev_b64 v[2:3], 4, v[6:7]
	v_add_u32_e32 v6, 0x99, v162
	v_mad_u64_u32 v[4:5], s[12:13], s2, v6, 0
	v_add_u32_e32 v8, 0x1ba, v162
	v_add_co_u32_e32 v2, vcc, v0, v2
	v_mad_u64_u32 v[5:6], s[12:13], s3, v6, v[5:6]
	v_mad_u64_u32 v[6:7], s[12:13], s2, v8, 0
	v_addc_co_u32_e32 v3, vcc, v1, v3, vcc
	global_store_dwordx4 v[2:3], v[22:25], off
	v_lshlrev_b64 v[2:3], 4, v[4:5]
	v_mov_b32_e32 v4, v7
	v_mad_u64_u32 v[4:5], s[12:13], s3, v8, v[4:5]
	v_add_co_u32_e32 v2, vcc, v0, v2
	v_addc_co_u32_e32 v3, vcc, v1, v3, vcc
	v_mov_b32_e32 v7, v4
	global_store_dwordx4 v[2:3], v[54:57], off
	v_lshlrev_b64 v[2:3], 4, v[6:7]
	v_add_u32_e32 v6, 0x2db, v162
	v_mad_u64_u32 v[4:5], s[12:13], s2, v6, 0
	v_add_u32_e32 v7, 0xcc, v162
	s_mov_b32 s12, 0xe2c4a689
	v_mul_hi_u32 v8, v7, s12
	v_mad_u64_u32 v[5:6], s[12:13], s3, v6, v[5:6]
	v_add_co_u32_e32 v2, vcc, v0, v2
	v_lshrrev_b32_e32 v6, 8, v8
	v_mad_u32_u24 v8, v6, s11, v7
	v_mad_u64_u32 v[6:7], s[12:13], s2, v8, 0
	v_addc_co_u32_e32 v3, vcc, v1, v3, vcc
	global_store_dwordx4 v[2:3], v[30:33], off
	v_lshlrev_b64 v[2:3], 4, v[4:5]
	v_mov_b32_e32 v4, v7
	v_mad_u64_u32 v[4:5], s[12:13], s3, v8, v[4:5]
	v_add_co_u32_e32 v2, vcc, v0, v2
	v_addc_co_u32_e32 v3, vcc, v1, v3, vcc
	v_mov_b32_e32 v7, v4
	global_store_dwordx4 v[2:3], v[10:13], off
	v_lshlrev_b64 v[2:3], 4, v[6:7]
	v_add_u32_e32 v6, 0x121, v8
	v_mad_u64_u32 v[4:5], s[12:13], s2, v6, 0
	v_add_u32_e32 v8, 0x242, v8
	v_add_co_u32_e32 v2, vcc, v0, v2
	v_mad_u64_u32 v[5:6], s[12:13], s3, v6, v[5:6]
	v_mad_u64_u32 v[6:7], s[12:13], s2, v8, 0
	v_addc_co_u32_e32 v3, vcc, v1, v3, vcc
	global_store_dwordx4 v[2:3], v[14:17], off
	v_lshlrev_b64 v[2:3], 4, v[4:5]
	v_mov_b32_e32 v4, v7
	v_mad_u64_u32 v[4:5], s[12:13], s3, v8, v[4:5]
	v_add_co_u32_e32 v2, vcc, v0, v2
	v_addc_co_u32_e32 v3, vcc, v1, v3, vcc
	v_mov_b32_e32 v7, v4
	global_store_dwordx4 v[2:3], v[60:63], off
	v_lshlrev_b64 v[2:3], 4, v[6:7]
	v_add_co_u32_e32 v2, vcc, v0, v2
	v_addc_co_u32_e32 v3, vcc, v1, v3, vcc
	global_store_dwordx4 v[2:3], v[34:37], off
	s_and_b64 exec, exec, s[0:1]
	s_cbranch_execz .LBB0_20
; %bb.19:
	v_subrev_u32_e32 v2, 34, v162
	v_cndmask_b32_e64 v2, v2, v163, s[0:1]
	v_lshlrev_b32_e32 v46, 1, v2
	v_lshlrev_b64 v[2:3], 4, v[46:47]
	v_mov_b32_e32 v4, s9
	v_add_co_u32_e32 v2, vcc, s8, v2
	v_addc_co_u32_e32 v7, vcc, v4, v3, vcc
	v_add_co_u32_e32 v6, vcc, 0x1100, v2
	s_mov_b64 s[0:1], vcc
	v_add_co_u32_e32 v2, vcc, s10, v2
	v_addc_co_u32_e32 v3, vcc, 0, v7, vcc
	global_load_dwordx4 v[2:5], v[2:3], off offset:256
	v_addc_co_u32_e64 v7, vcc, 0, v7, s[0:1]
	global_load_dwordx4 v[6:9], v[6:7], off offset:16
	v_add_u32_e32 v20, 0xff, v162
	v_add_u32_e32 v22, 0x220, v162
	;; [unrolled: 1-line block ×3, first 2 shown]
	v_mad_u64_u32 v[10:11], s[0:1], s2, v20, 0
	v_mad_u64_u32 v[12:13], s[0:1], s2, v22, 0
	;; [unrolled: 1-line block ×5, first 2 shown]
	v_mov_b32_e32 v11, v20
	v_mov_b32_e32 v13, v21
	v_lshlrev_b64 v[20:21], 4, v[12:13]
	s_waitcnt vmcnt(1)
	v_mul_f64 v[16:17], v[42:43], v[4:5]
	v_mul_f64 v[4:5], v[66:67], v[4:5]
	s_waitcnt vmcnt(0)
	v_mul_f64 v[18:19], v[44:45], v[8:9]
	v_mul_f64 v[8:9], v[70:71], v[8:9]
	v_fma_f64 v[16:17], v[66:67], v[2:3], -v[16:17]
	v_fma_f64 v[2:3], v[42:43], v[2:3], v[4:5]
	v_fma_f64 v[4:5], v[70:71], v[6:7], -v[18:19]
	v_fma_f64 v[6:7], v[44:45], v[6:7], v[8:9]
	v_mad_u64_u32 v[8:9], s[0:1], s3, v23, v[15:16]
	v_add_f64 v[12:13], v[58:59], v[16:17]
	v_add_f64 v[24:25], v[40:41], v[2:3]
	v_mov_b32_e32 v15, v8
	v_lshlrev_b64 v[8:9], 4, v[10:11]
	v_add_f64 v[10:11], v[16:17], v[4:5]
	v_add_f64 v[18:19], v[2:3], v[6:7]
	v_add_f64 v[22:23], v[2:3], -v[6:7]
	v_add_f64 v[16:17], v[16:17], -v[4:5]
	v_add_co_u32_e32 v26, vcc, v0, v8
	v_add_f64 v[2:3], v[12:13], v[4:5]
	v_add_f64 v[4:5], v[24:25], v[6:7]
	v_fma_f64 v[10:11], v[10:11], -0.5, v[58:59]
	v_fma_f64 v[18:19], v[18:19], -0.5, v[40:41]
	v_addc_co_u32_e32 v27, vcc, v1, v9, vcc
	v_lshlrev_b64 v[14:15], 4, v[14:15]
	v_fma_f64 v[6:7], v[22:23], s[4:5], v[10:11]
	v_fma_f64 v[8:9], v[16:17], s[6:7], v[18:19]
	;; [unrolled: 1-line block ×4, first 2 shown]
	v_add_co_u32_e32 v16, vcc, v0, v20
	v_addc_co_u32_e32 v17, vcc, v1, v21, vcc
	v_add_co_u32_e32 v0, vcc, v0, v14
	v_addc_co_u32_e32 v1, vcc, v1, v15, vcc
	global_store_dwordx4 v[26:27], v[2:5], off
	global_store_dwordx4 v[16:17], v[6:9], off
	;; [unrolled: 1-line block ×3, first 2 shown]
.LBB0_20:
	s_endpgm
	.section	.rodata,"a",@progbits
	.p2align	6, 0x0
	.amdhsa_kernel fft_rtc_fwd_len867_factors_17_17_3_wgs_51_tpt_51_halfLds_dp_ip_CI_sbrr_dirReg
		.amdhsa_group_segment_fixed_size 0
		.amdhsa_private_segment_fixed_size 0
		.amdhsa_kernarg_size 88
		.amdhsa_user_sgpr_count 6
		.amdhsa_user_sgpr_private_segment_buffer 1
		.amdhsa_user_sgpr_dispatch_ptr 0
		.amdhsa_user_sgpr_queue_ptr 0
		.amdhsa_user_sgpr_kernarg_segment_ptr 1
		.amdhsa_user_sgpr_dispatch_id 0
		.amdhsa_user_sgpr_flat_scratch_init 0
		.amdhsa_user_sgpr_private_segment_size 0
		.amdhsa_uses_dynamic_stack 0
		.amdhsa_system_sgpr_private_segment_wavefront_offset 0
		.amdhsa_system_sgpr_workgroup_id_x 1
		.amdhsa_system_sgpr_workgroup_id_y 0
		.amdhsa_system_sgpr_workgroup_id_z 0
		.amdhsa_system_sgpr_workgroup_info 0
		.amdhsa_system_vgpr_workitem_id 0
		.amdhsa_next_free_vgpr 249
		.amdhsa_next_free_sgpr 60
		.amdhsa_reserve_vcc 1
		.amdhsa_reserve_flat_scratch 0
		.amdhsa_float_round_mode_32 0
		.amdhsa_float_round_mode_16_64 0
		.amdhsa_float_denorm_mode_32 3
		.amdhsa_float_denorm_mode_16_64 3
		.amdhsa_dx10_clamp 1
		.amdhsa_ieee_mode 1
		.amdhsa_fp16_overflow 0
		.amdhsa_exception_fp_ieee_invalid_op 0
		.amdhsa_exception_fp_denorm_src 0
		.amdhsa_exception_fp_ieee_div_zero 0
		.amdhsa_exception_fp_ieee_overflow 0
		.amdhsa_exception_fp_ieee_underflow 0
		.amdhsa_exception_fp_ieee_inexact 0
		.amdhsa_exception_int_div_zero 0
	.end_amdhsa_kernel
	.text
.Lfunc_end0:
	.size	fft_rtc_fwd_len867_factors_17_17_3_wgs_51_tpt_51_halfLds_dp_ip_CI_sbrr_dirReg, .Lfunc_end0-fft_rtc_fwd_len867_factors_17_17_3_wgs_51_tpt_51_halfLds_dp_ip_CI_sbrr_dirReg
                                        ; -- End function
	.section	.AMDGPU.csdata,"",@progbits
; Kernel info:
; codeLenInByte = 18092
; NumSgprs: 64
; NumVgprs: 249
; ScratchSize: 0
; MemoryBound: 1
; FloatMode: 240
; IeeeMode: 1
; LDSByteSize: 0 bytes/workgroup (compile time only)
; SGPRBlocks: 7
; VGPRBlocks: 62
; NumSGPRsForWavesPerEU: 64
; NumVGPRsForWavesPerEU: 249
; Occupancy: 1
; WaveLimiterHint : 1
; COMPUTE_PGM_RSRC2:SCRATCH_EN: 0
; COMPUTE_PGM_RSRC2:USER_SGPR: 6
; COMPUTE_PGM_RSRC2:TRAP_HANDLER: 0
; COMPUTE_PGM_RSRC2:TGID_X_EN: 1
; COMPUTE_PGM_RSRC2:TGID_Y_EN: 0
; COMPUTE_PGM_RSRC2:TGID_Z_EN: 0
; COMPUTE_PGM_RSRC2:TIDIG_COMP_CNT: 0
	.type	__hip_cuid_ddfa00a66b2a69b2,@object ; @__hip_cuid_ddfa00a66b2a69b2
	.section	.bss,"aw",@nobits
	.globl	__hip_cuid_ddfa00a66b2a69b2
__hip_cuid_ddfa00a66b2a69b2:
	.byte	0                               ; 0x0
	.size	__hip_cuid_ddfa00a66b2a69b2, 1

	.ident	"AMD clang version 19.0.0git (https://github.com/RadeonOpenCompute/llvm-project roc-6.4.0 25133 c7fe45cf4b819c5991fe208aaa96edf142730f1d)"
	.section	".note.GNU-stack","",@progbits
	.addrsig
	.addrsig_sym __hip_cuid_ddfa00a66b2a69b2
	.amdgpu_metadata
---
amdhsa.kernels:
  - .args:
      - .actual_access:  read_only
        .address_space:  global
        .offset:         0
        .size:           8
        .value_kind:     global_buffer
      - .offset:         8
        .size:           8
        .value_kind:     by_value
      - .actual_access:  read_only
        .address_space:  global
        .offset:         16
        .size:           8
        .value_kind:     global_buffer
      - .actual_access:  read_only
        .address_space:  global
        .offset:         24
        .size:           8
        .value_kind:     global_buffer
      - .offset:         32
        .size:           8
        .value_kind:     by_value
      - .actual_access:  read_only
        .address_space:  global
        .offset:         40
        .size:           8
        .value_kind:     global_buffer
      - .actual_access:  read_only
        .address_space:  global
        .offset:         48
        .size:           8
        .value_kind:     global_buffer
      - .offset:         56
        .size:           4
        .value_kind:     by_value
      - .actual_access:  read_only
        .address_space:  global
        .offset:         64
        .size:           8
        .value_kind:     global_buffer
      - .actual_access:  read_only
        .address_space:  global
        .offset:         72
        .size:           8
        .value_kind:     global_buffer
      - .address_space:  global
        .offset:         80
        .size:           8
        .value_kind:     global_buffer
    .group_segment_fixed_size: 0
    .kernarg_segment_align: 8
    .kernarg_segment_size: 88
    .language:       OpenCL C
    .language_version:
      - 2
      - 0
    .max_flat_workgroup_size: 51
    .name:           fft_rtc_fwd_len867_factors_17_17_3_wgs_51_tpt_51_halfLds_dp_ip_CI_sbrr_dirReg
    .private_segment_fixed_size: 0
    .sgpr_count:     64
    .sgpr_spill_count: 0
    .symbol:         fft_rtc_fwd_len867_factors_17_17_3_wgs_51_tpt_51_halfLds_dp_ip_CI_sbrr_dirReg.kd
    .uniform_work_group_size: 1
    .uses_dynamic_stack: false
    .vgpr_count:     249
    .vgpr_spill_count: 0
    .wavefront_size: 64
amdhsa.target:   amdgcn-amd-amdhsa--gfx906
amdhsa.version:
  - 1
  - 2
...

	.end_amdgpu_metadata
